;; amdgpu-corpus repo=ROCm/rocFFT kind=compiled arch=gfx1030 opt=O3
	.text
	.amdgcn_target "amdgcn-amd-amdhsa--gfx1030"
	.amdhsa_code_object_version 6
	.protected	fft_rtc_fwd_len1260_factors_2_2_3_3_5_7_wgs_63_tpt_63_halfLds_sp_ip_CI_unitstride_sbrr_dirReg ; -- Begin function fft_rtc_fwd_len1260_factors_2_2_3_3_5_7_wgs_63_tpt_63_halfLds_sp_ip_CI_unitstride_sbrr_dirReg
	.globl	fft_rtc_fwd_len1260_factors_2_2_3_3_5_7_wgs_63_tpt_63_halfLds_sp_ip_CI_unitstride_sbrr_dirReg
	.p2align	8
	.type	fft_rtc_fwd_len1260_factors_2_2_3_3_5_7_wgs_63_tpt_63_halfLds_sp_ip_CI_unitstride_sbrr_dirReg,@function
fft_rtc_fwd_len1260_factors_2_2_3_3_5_7_wgs_63_tpt_63_halfLds_sp_ip_CI_unitstride_sbrr_dirReg: ; @fft_rtc_fwd_len1260_factors_2_2_3_3_5_7_wgs_63_tpt_63_halfLds_sp_ip_CI_unitstride_sbrr_dirReg
; %bb.0:
	s_clause 0x2
	s_load_dwordx4 s[8:11], s[4:5], 0x0
	s_load_dwordx2 s[2:3], s[4:5], 0x50
	s_load_dwordx2 s[12:13], s[4:5], 0x18
	v_mul_u32_u24_e32 v1, 0x411, v0
	v_mov_b32_e32 v3, 0
	v_add_nc_u32_sdwa v5, s6, v1 dst_sel:DWORD dst_unused:UNUSED_PAD src0_sel:DWORD src1_sel:WORD_1
	v_mov_b32_e32 v1, 0
	v_mov_b32_e32 v6, v3
	v_mov_b32_e32 v2, 0
	s_waitcnt lgkmcnt(0)
	v_cmp_lt_u64_e64 s0, s[10:11], 2
	s_and_b32 vcc_lo, exec_lo, s0
	s_cbranch_vccnz .LBB0_8
; %bb.1:
	s_load_dwordx2 s[0:1], s[4:5], 0x10
	v_mov_b32_e32 v1, 0
	s_add_u32 s6, s12, 8
	v_mov_b32_e32 v2, 0
	s_addc_u32 s7, s13, 0
	s_mov_b64 s[16:17], 1
	s_waitcnt lgkmcnt(0)
	s_add_u32 s14, s0, 8
	s_addc_u32 s15, s1, 0
.LBB0_2:                                ; =>This Inner Loop Header: Depth=1
	s_load_dwordx2 s[18:19], s[14:15], 0x0
                                        ; implicit-def: $vgpr12_vgpr13
	s_mov_b32 s0, exec_lo
	s_waitcnt lgkmcnt(0)
	v_or_b32_e32 v4, s19, v6
	v_cmpx_ne_u64_e32 0, v[3:4]
	s_xor_b32 s1, exec_lo, s0
	s_cbranch_execz .LBB0_4
; %bb.3:                                ;   in Loop: Header=BB0_2 Depth=1
	v_cvt_f32_u32_e32 v4, s18
	v_cvt_f32_u32_e32 v7, s19
	s_sub_u32 s0, 0, s18
	s_subb_u32 s20, 0, s19
	v_fmac_f32_e32 v4, 0x4f800000, v7
	v_rcp_f32_e32 v4, v4
	v_mul_f32_e32 v4, 0x5f7ffffc, v4
	v_mul_f32_e32 v7, 0x2f800000, v4
	v_trunc_f32_e32 v7, v7
	v_fmac_f32_e32 v4, 0xcf800000, v7
	v_cvt_u32_f32_e32 v7, v7
	v_cvt_u32_f32_e32 v4, v4
	v_mul_lo_u32 v8, s0, v7
	v_mul_hi_u32 v9, s0, v4
	v_mul_lo_u32 v10, s20, v4
	v_add_nc_u32_e32 v8, v9, v8
	v_mul_lo_u32 v9, s0, v4
	v_add_nc_u32_e32 v8, v8, v10
	v_mul_hi_u32 v10, v4, v9
	v_mul_lo_u32 v11, v4, v8
	v_mul_hi_u32 v12, v4, v8
	v_mul_hi_u32 v13, v7, v9
	v_mul_lo_u32 v9, v7, v9
	v_mul_hi_u32 v14, v7, v8
	v_mul_lo_u32 v8, v7, v8
	v_add_co_u32 v10, vcc_lo, v10, v11
	v_add_co_ci_u32_e32 v11, vcc_lo, 0, v12, vcc_lo
	v_add_co_u32 v9, vcc_lo, v10, v9
	v_add_co_ci_u32_e32 v9, vcc_lo, v11, v13, vcc_lo
	v_add_co_ci_u32_e32 v10, vcc_lo, 0, v14, vcc_lo
	v_add_co_u32 v8, vcc_lo, v9, v8
	v_add_co_ci_u32_e32 v9, vcc_lo, 0, v10, vcc_lo
	v_add_co_u32 v4, vcc_lo, v4, v8
	v_add_co_ci_u32_e32 v7, vcc_lo, v7, v9, vcc_lo
	v_mul_hi_u32 v8, s0, v4
	v_mul_lo_u32 v10, s20, v4
	v_mul_lo_u32 v9, s0, v7
	v_add_nc_u32_e32 v8, v8, v9
	v_mul_lo_u32 v9, s0, v4
	v_add_nc_u32_e32 v8, v8, v10
	v_mul_hi_u32 v10, v4, v9
	v_mul_lo_u32 v11, v4, v8
	v_mul_hi_u32 v12, v4, v8
	v_mul_hi_u32 v13, v7, v9
	v_mul_lo_u32 v9, v7, v9
	v_mul_hi_u32 v14, v7, v8
	v_mul_lo_u32 v8, v7, v8
	v_add_co_u32 v10, vcc_lo, v10, v11
	v_add_co_ci_u32_e32 v11, vcc_lo, 0, v12, vcc_lo
	v_add_co_u32 v9, vcc_lo, v10, v9
	v_add_co_ci_u32_e32 v9, vcc_lo, v11, v13, vcc_lo
	v_add_co_ci_u32_e32 v10, vcc_lo, 0, v14, vcc_lo
	v_add_co_u32 v8, vcc_lo, v9, v8
	v_add_co_ci_u32_e32 v9, vcc_lo, 0, v10, vcc_lo
	v_add_co_u32 v4, vcc_lo, v4, v8
	v_add_co_ci_u32_e32 v11, vcc_lo, v7, v9, vcc_lo
	v_mul_hi_u32 v13, v5, v4
	v_mad_u64_u32 v[9:10], null, v6, v4, 0
	v_mad_u64_u32 v[7:8], null, v5, v11, 0
	;; [unrolled: 1-line block ×3, first 2 shown]
	v_add_co_u32 v4, vcc_lo, v13, v7
	v_add_co_ci_u32_e32 v7, vcc_lo, 0, v8, vcc_lo
	v_add_co_u32 v4, vcc_lo, v4, v9
	v_add_co_ci_u32_e32 v4, vcc_lo, v7, v10, vcc_lo
	v_add_co_ci_u32_e32 v7, vcc_lo, 0, v12, vcc_lo
	v_add_co_u32 v4, vcc_lo, v4, v11
	v_add_co_ci_u32_e32 v9, vcc_lo, 0, v7, vcc_lo
	v_mul_lo_u32 v10, s19, v4
	v_mad_u64_u32 v[7:8], null, s18, v4, 0
	v_mul_lo_u32 v11, s18, v9
	v_sub_co_u32 v7, vcc_lo, v5, v7
	v_add3_u32 v8, v8, v11, v10
	v_sub_nc_u32_e32 v10, v6, v8
	v_subrev_co_ci_u32_e64 v10, s0, s19, v10, vcc_lo
	v_add_co_u32 v11, s0, v4, 2
	v_add_co_ci_u32_e64 v12, s0, 0, v9, s0
	v_sub_co_u32 v13, s0, v7, s18
	v_sub_co_ci_u32_e32 v8, vcc_lo, v6, v8, vcc_lo
	v_subrev_co_ci_u32_e64 v10, s0, 0, v10, s0
	v_cmp_le_u32_e32 vcc_lo, s18, v13
	v_cmp_eq_u32_e64 s0, s19, v8
	v_cndmask_b32_e64 v13, 0, -1, vcc_lo
	v_cmp_le_u32_e32 vcc_lo, s19, v10
	v_cndmask_b32_e64 v14, 0, -1, vcc_lo
	v_cmp_le_u32_e32 vcc_lo, s18, v7
	;; [unrolled: 2-line block ×3, first 2 shown]
	v_cndmask_b32_e64 v15, 0, -1, vcc_lo
	v_cmp_eq_u32_e32 vcc_lo, s19, v10
	v_cndmask_b32_e64 v7, v15, v7, s0
	v_cndmask_b32_e32 v10, v14, v13, vcc_lo
	v_add_co_u32 v13, vcc_lo, v4, 1
	v_add_co_ci_u32_e32 v14, vcc_lo, 0, v9, vcc_lo
	v_cmp_ne_u32_e32 vcc_lo, 0, v10
	v_cndmask_b32_e32 v8, v14, v12, vcc_lo
	v_cndmask_b32_e32 v10, v13, v11, vcc_lo
	v_cmp_ne_u32_e32 vcc_lo, 0, v7
	v_cndmask_b32_e32 v13, v9, v8, vcc_lo
	v_cndmask_b32_e32 v12, v4, v10, vcc_lo
.LBB0_4:                                ;   in Loop: Header=BB0_2 Depth=1
	s_andn2_saveexec_b32 s0, s1
	s_cbranch_execz .LBB0_6
; %bb.5:                                ;   in Loop: Header=BB0_2 Depth=1
	v_cvt_f32_u32_e32 v4, s18
	s_sub_i32 s1, 0, s18
	v_mov_b32_e32 v13, v3
	v_rcp_iflag_f32_e32 v4, v4
	v_mul_f32_e32 v4, 0x4f7ffffe, v4
	v_cvt_u32_f32_e32 v4, v4
	v_mul_lo_u32 v7, s1, v4
	v_mul_hi_u32 v7, v4, v7
	v_add_nc_u32_e32 v4, v4, v7
	v_mul_hi_u32 v4, v5, v4
	v_mul_lo_u32 v7, v4, s18
	v_add_nc_u32_e32 v8, 1, v4
	v_sub_nc_u32_e32 v7, v5, v7
	v_subrev_nc_u32_e32 v9, s18, v7
	v_cmp_le_u32_e32 vcc_lo, s18, v7
	v_cndmask_b32_e32 v7, v7, v9, vcc_lo
	v_cndmask_b32_e32 v4, v4, v8, vcc_lo
	v_cmp_le_u32_e32 vcc_lo, s18, v7
	v_add_nc_u32_e32 v8, 1, v4
	v_cndmask_b32_e32 v12, v4, v8, vcc_lo
.LBB0_6:                                ;   in Loop: Header=BB0_2 Depth=1
	s_or_b32 exec_lo, exec_lo, s0
	s_load_dwordx2 s[0:1], s[6:7], 0x0
	v_mul_lo_u32 v4, v13, s18
	v_mul_lo_u32 v9, v12, s19
	v_mad_u64_u32 v[7:8], null, v12, s18, 0
	s_add_u32 s16, s16, 1
	s_addc_u32 s17, s17, 0
	s_add_u32 s6, s6, 8
	s_addc_u32 s7, s7, 0
	;; [unrolled: 2-line block ×3, first 2 shown]
	v_add3_u32 v4, v8, v9, v4
	v_sub_co_u32 v5, vcc_lo, v5, v7
	v_sub_co_ci_u32_e32 v4, vcc_lo, v6, v4, vcc_lo
	s_waitcnt lgkmcnt(0)
	v_mul_lo_u32 v6, s1, v5
	v_mul_lo_u32 v4, s0, v4
	v_mad_u64_u32 v[1:2], null, s0, v5, v[1:2]
	v_cmp_ge_u64_e64 s0, s[16:17], s[10:11]
	s_and_b32 vcc_lo, exec_lo, s0
	v_add3_u32 v2, v6, v2, v4
	s_cbranch_vccnz .LBB0_9
; %bb.7:                                ;   in Loop: Header=BB0_2 Depth=1
	v_mov_b32_e32 v5, v12
	v_mov_b32_e32 v6, v13
	s_branch .LBB0_2
.LBB0_8:
	v_mov_b32_e32 v13, v6
	v_mov_b32_e32 v12, v5
.LBB0_9:
	s_lshl_b64 s[0:1], s[10:11], 3
	v_mul_hi_u32 v3, 0x4104105, v0
	s_add_u32 s0, s12, s0
	s_addc_u32 s1, s13, s1
	v_mov_b32_e32 v10, 0
	s_load_dwordx2 s[0:1], s[0:1], 0x0
	s_load_dwordx2 s[4:5], s[4:5], 0x20
	v_mov_b32_e32 v11, 0
	v_mov_b32_e32 v4, v10
	;; [unrolled: 1-line block ×3, first 2 shown]
	v_mul_u32_u24_e32 v3, 63, v3
	v_mov_b32_e32 v8, v10
	v_mov_b32_e32 v16, v11
	;; [unrolled: 1-line block ×4, first 2 shown]
	v_sub_nc_u32_e32 v0, v0, v3
	v_mov_b32_e32 v34, v11
	v_mov_b32_e32 v38, v11
	;; [unrolled: 1-line block ×9, first 2 shown]
	s_waitcnt lgkmcnt(0)
	v_mul_lo_u32 v14, s0, v13
	v_mul_lo_u32 v17, s1, v12
	v_mad_u64_u32 v[1:2], null, s0, v12, v[1:2]
	v_cmp_gt_u64_e32 vcc_lo, s[4:5], v[12:13]
	v_mov_b32_e32 v37, v10
                                        ; implicit-def: $vgpr13
                                        ; implicit-def: $vgpr32
                                        ; implicit-def: $vgpr30
                                        ; implicit-def: $vgpr28
                                        ; implicit-def: $vgpr48
                                        ; implicit-def: $vgpr44
                                        ; implicit-def: $vgpr42
                                        ; implicit-def: $vgpr40
                                        ; implicit-def: $vgpr46
                                        ; implicit-def: $vgpr36
	v_add3_u32 v2, v17, v2, v14
	v_mov_b32_e32 v18, v11
	v_mov_b32_e32 v17, v10
	v_lshlrev_b64 v[2:3], 3, v[1:2]
	s_and_saveexec_b32 s1, vcc_lo
	s_cbranch_execz .LBB0_11
; %bb.10:
	v_mov_b32_e32 v1, 0
	v_lshlrev_b64 v[4:5], 3, v[0:1]
	v_add_co_u32 v1, s0, s2, v2
	v_add_co_ci_u32_e64 v6, s0, s3, v3, s0
	v_add_co_u32 v12, s0, v1, v4
	v_add_co_ci_u32_e64 v13, s0, v6, v5, s0
	;; [unrolled: 2-line block ×5, first 2 shown]
	s_clause 0x5
	global_load_dwordx2 v[10:11], v[12:13], off
	global_load_dwordx2 v[4:5], v[12:13], off offset:504
	global_load_dwordx2 v[6:7], v[12:13], off offset:1008
	;; [unrolled: 1-line block ×5, first 2 shown]
	v_add_co_u32 v12, s0, 0x2000, v12
	v_add_co_ci_u32_e64 v13, s0, 0, v13, s0
	s_clause 0xd
	global_load_dwordx2 v[45:46], v[19:20], off offset:1952
	global_load_dwordx2 v[31:32], v[23:24], off offset:408
	;; [unrolled: 1-line block ×14, first 2 shown]
.LBB0_11:
	s_or_b32 exec_lo, exec_lo, s1
	s_waitcnt vmcnt(11)
	v_sub_f32_e32 v52, v15, v29
	v_add_nc_u32_e32 v69, 0xfc, v0
	s_waitcnt vmcnt(1)
	v_sub_f32_e32 v14, v10, v12
	v_sub_f32_e32 v50, v11, v13
	;; [unrolled: 1-line block ×4, first 2 shown]
	v_add_nc_u32_e32 v1, 63, v0
	v_fma_f32 v51, v15, 2.0, -v52
	v_lshl_add_u32 v35, v69, 3, 0
	v_sub_f32_e32 v20, v6, v45
	v_fma_f32 v49, v11, 2.0, -v50
	v_fma_f32 v11, v4, 2.0, -v12
	;; [unrolled: 1-line block ×3, first 2 shown]
	v_lshl_add_u32 v17, v1, 3, 0
	v_fma_f32 v13, v10, 2.0, -v14
	v_sub_f32_e32 v24, v8, v31
	v_lshl_add_u32 v4, v0, 3, 0
	v_sub_f32_e32 v54, v21, v27
	v_add_nc_u32_e32 v68, 0x13b, v0
	v_add_nc_u32_e32 v64, 0x7e, v0
	;; [unrolled: 1-line block ×4, first 2 shown]
	ds_write_b64 v35, v[51:52]
	s_waitcnt vmcnt(0)
	v_sub_f32_e32 v15, v37, v43
	v_add_nc_u32_e32 v52, 0x237, v0
	v_fma_f32 v19, v6, 2.0, -v20
	ds_write_b64 v17, v[11:12]
	v_sub_f32_e32 v11, v25, v47
	v_add_nc_u32_e32 v47, 0x1b9, v0
	v_lshl_add_u32 v65, v0, 2, 0
	v_sub_f32_e32 v6, v5, v36
	v_fma_f32 v23, v8, 2.0, -v24
	ds_write_b64 v4, v[13:14]
	v_sub_f32_e32 v13, v33, v41
	v_add_nc_u32_e32 v51, 0x1f8, v0
	v_sub_f32_e32 v8, v7, v46
	v_fma_f32 v53, v21, 2.0, -v54
	v_lshl_add_u32 v39, v68, 3, 0
	v_sub_f32_e32 v32, v9, v32
	v_lshl_add_u32 v27, v64, 3, 0
	v_lshl_add_u32 v29, v66, 3, 0
	;; [unrolled: 1-line block ×3, first 2 shown]
	v_fma_f32 v14, v37, 2.0, -v15
	v_lshl_add_u32 v37, v52, 3, 0
	v_fma_f32 v10, v25, 2.0, -v11
	v_lshl_add_u32 v41, v47, 3, 0
	v_add_nc_u32_e32 v71, 0x800, v65
	v_fma_f32 v5, v5, 2.0, -v6
	v_fma_f32 v12, v33, 2.0, -v13
	v_lshl_add_u32 v33, v51, 3, 0
	v_fma_f32 v7, v7, 2.0, -v8
	ds_write_b64 v39, v[53:54]
	v_add_nc_u32_e32 v53, 0xa00, v65
	v_fma_f32 v31, v9, 2.0, -v32
	v_add_nc_u32_e32 v72, 0x200, v65
	ds_write_b64 v27, v[19:20]
	ds_write_b64 v29, v[23:24]
	;; [unrolled: 1-line block ×6, first 2 shown]
	s_waitcnt lgkmcnt(0)
	s_barrier
	buffer_gl0_inv
	v_add_nc_u32_e32 v73, 0xc00, v65
	v_add_nc_u32_e32 v76, 0x400, v65
	;; [unrolled: 1-line block ×5, first 2 shown]
	ds_read2_b32 v[77:78], v65 offset1:63
	ds_read2_b32 v[24:25], v71 offset0:118 offset1:181
	ds_read2_b32 v[89:90], v65 offset0:126 offset1:189
	;; [unrolled: 1-line block ×9, first 2 shown]
	s_waitcnt lgkmcnt(0)
	s_barrier
	buffer_gl0_inv
	v_sub_f32_e32 v9, v16, v30
	ds_write_b64 v4, v[49:50]
	ds_write_b64 v17, v[5:6]
	;; [unrolled: 1-line block ×4, first 2 shown]
	v_sub_f32_e32 v5, v22, v28
	v_sub_f32_e32 v7, v18, v40
	v_sub_f32_e32 v17, v26, v48
	v_sub_f32_e32 v19, v34, v42
	v_fma_f32 v8, v16, 2.0, -v9
	v_fma_f32 v4, v22, 2.0, -v5
	;; [unrolled: 1-line block ×5, first 2 shown]
	v_sub_f32_e32 v23, v38, v44
	ds_write_b64 v35, v[8:9]
	v_and_b32_e32 v8, 1, v0
	ds_write_b64 v39, v[4:5]
	ds_write_b64 v45, v[6:7]
	;; [unrolled: 1-line block ×4, first 2 shown]
	v_and_b32_e32 v6, 1, v66
	v_fma_f32 v22, v38, 2.0, -v23
	v_and_b32_e32 v5, 1, v1
	v_lshlrev_b32_e32 v4, 3, v8
	v_and_b32_e32 v7, 1, v68
	v_lshlrev_b32_e32 v16, 3, v6
	ds_write_b64 v37, v[22:23]
	s_waitcnt lgkmcnt(0)
	s_barrier
	buffer_gl0_inv
	s_clause 0x1
	global_load_dwordx2 v[32:33], v4, s[8:9]
	global_load_dwordx2 v[42:43], v16, s[8:9]
	v_lshlrev_b32_e32 v4, 3, v5
	v_and_b32_e32 v9, 1, v47
	v_and_b32_e32 v17, 1, v52
	v_lshlrev_b32_e32 v18, 3, v7
	v_lshlrev_b32_e32 v27, 1, v47
	global_load_dwordx2 v[40:41], v4, s[8:9]
	v_lshlrev_b32_e32 v4, 3, v9
	v_lshlrev_b32_e32 v16, 3, v17
	s_clause 0x2
	global_load_dwordx2 v[38:39], v18, s[8:9]
	global_load_dwordx2 v[36:37], v4, s[8:9]
	;; [unrolled: 1-line block ×3, first 2 shown]
	ds_read2_b32 v[60:61], v71 offset0:118 offset1:181
	v_lshlrev_b32_e32 v4, 1, v0
	v_lshlrev_b32_e32 v28, 1, v51
	;; [unrolled: 1-line block ×3, first 2 shown]
	ds_read2_b32 v[62:63], v53 offset0:116 offset1:179
	ds_read2_b32 v[44:45], v54 offset0:120 offset1:183
	ds_read2_b32 v[52:53], v65 offset1:63
	ds_read2_b32 v[50:51], v65 offset0:126 offset1:189
	ds_read2_b32 v[46:47], v72 offset0:124 offset1:187
	;; [unrolled: 1-line block ×6, first 2 shown]
	v_lshlrev_b32_e32 v16, 1, v1
	v_and_or_b32 v4, 0x7c, v4, v8
	v_lshlrev_b32_e32 v18, 1, v64
	v_lshlrev_b32_e32 v22, 1, v69
	;; [unrolled: 1-line block ×4, first 2 shown]
	v_lshl_add_u32 v79, v4, 2, 0
	v_and_or_b32 v4, 0xfc, v16, v5
	v_lshlrev_b32_e32 v26, 1, v67
	v_and_or_b32 v9, 0x3fc, v27, v9
	v_and_or_b32 v5, 0x1fc, v18, v8
	;; [unrolled: 1-line block ×3, first 2 shown]
	v_lshl_add_u32 v80, v4, 2, 0
	v_and_or_b32 v6, 0x1fc, v19, v6
	v_and_or_b32 v7, 0x2fc, v23, v7
	;; [unrolled: 1-line block ×5, first 2 shown]
	v_lshl_add_u32 v86, v9, 2, 0
	v_lshl_add_u32 v81, v5, 2, 0
	;; [unrolled: 1-line block ×8, first 2 shown]
	s_waitcnt vmcnt(0) lgkmcnt(0)
	s_barrier
	buffer_gl0_inv
	v_cmp_gt_u32_e64 s0, 42, v0
	v_mul_f32_e32 v4, v60, v33
	v_mul_f32_e32 v5, v62, v33
	;; [unrolled: 1-line block ×5, first 2 shown]
	v_fma_f32 v4, v24, v32, -v4
	v_mul_f32_e32 v8, v54, v33
	v_mul_f32_e32 v9, v61, v41
	v_fma_f32 v5, v20, v32, -v5
	v_fma_f32 v16, v21, v42, -v16
	v_mul_f32_e32 v17, v57, v39
	v_mul_f32_e32 v18, v59, v37
	;; [unrolled: 1-line block ×3, first 2 shown]
	v_sub_f32_e32 v4, v77, v4
	v_fma_f32 v9, v25, v40, -v9
	v_fma_f32 v6, v14, v32, -v6
	;; [unrolled: 1-line block ×7, first 2 shown]
	v_fma_f32 v22, v77, 2.0, -v4
	v_sub_f32_e32 v9, v78, v9
	v_sub_f32_e32 v5, v89, v5
	;; [unrolled: 1-line block ×9, first 2 shown]
	ds_write2_b32 v79, v22, v4 offset1:2
	v_fma_f32 v4, v78, 2.0, -v9
	v_fma_f32 v23, v89, 2.0, -v5
	;; [unrolled: 1-line block ×9, first 2 shown]
	ds_write2_b32 v80, v4, v9 offset1:2
	ds_write2_b32 v81, v23, v5 offset1:2
	;; [unrolled: 1-line block ×9, first 2 shown]
	s_waitcnt lgkmcnt(0)
	s_barrier
	buffer_gl0_inv
	ds_read2_b32 v[8:9], v65 offset1:63
	ds_read2_b32 v[30:31], v76 offset0:164 offset1:227
	ds_read2_b32 v[28:29], v73 offset0:72 offset1:135
	;; [unrolled: 1-line block ×8, first 2 shown]
                                        ; implicit-def: $vgpr78
	s_and_saveexec_b32 s1, s0
	s_cbranch_execz .LBB0_13
; %bb.12:
	ds_read_b32 v70, v65 offset:1512
	ds_read_b32 v77, v65 offset:3192
	;; [unrolled: 1-line block ×3, first 2 shown]
.LBB0_13:
	s_or_b32 exec_lo, exec_lo, s1
	v_mul_f32_e32 v24, v24, v33
	v_mul_f32_e32 v25, v25, v41
	;; [unrolled: 1-line block ×9, first 2 shown]
	v_fmac_f32_e32 v24, v60, v32
	v_mul_f32_e32 v11, v11, v35
	v_fmac_f32_e32 v25, v61, v40
	v_fmac_f32_e32 v20, v62, v32
	;; [unrolled: 1-line block ×9, first 2 shown]
	v_sub_f32_e32 v24, v52, v24
	v_sub_f32_e32 v25, v53, v25
	;; [unrolled: 1-line block ×9, first 2 shown]
	v_fma_f32 v32, v52, 2.0, -v24
	v_sub_f32_e32 v42, v45, v11
	v_fma_f32 v33, v53, 2.0, -v25
	v_fma_f32 v34, v50, 2.0, -v20
	;; [unrolled: 1-line block ×9, first 2 shown]
	s_waitcnt lgkmcnt(0)
	s_barrier
	buffer_gl0_inv
	ds_write2_b32 v79, v32, v24 offset1:2
	ds_write2_b32 v80, v33, v25 offset1:2
	;; [unrolled: 1-line block ×10, first 2 shown]
	s_waitcnt lgkmcnt(0)
	s_barrier
	buffer_gl0_inv
	ds_read2_b32 v[14:15], v65 offset1:63
	ds_read2_b32 v[38:39], v76 offset0:164 offset1:227
	ds_read2_b32 v[36:37], v73 offset0:72 offset1:135
	;; [unrolled: 1-line block ×8, first 2 shown]
                                        ; implicit-def: $vgpr43
	s_and_saveexec_b32 s1, s0
	s_cbranch_execz .LBB0_15
; %bb.14:
	ds_read_b32 v40, v65 offset:1512
	ds_read_b32 v42, v65 offset:3192
	;; [unrolled: 1-line block ×3, first 2 shown]
.LBB0_15:
	s_or_b32 exec_lo, exec_lo, s1
	v_and_b32_e32 v45, 3, v0
	v_and_b32_e32 v46, 3, v1
	;; [unrolled: 1-line block ×5, first 2 shown]
	v_lshlrev_b32_e32 v41, 4, v45
	v_lshlrev_b32_e32 v44, 4, v46
	v_lshrrev_b32_e32 v50, 2, v0
	v_lshrrev_b32_e32 v51, 2, v1
	;; [unrolled: 1-line block ×3, first 2 shown]
	s_clause 0x1
	global_load_dwordx4 v[79:82], v41, s[8:9] offset:16
	global_load_dwordx4 v[71:74], v44, s[8:9] offset:16
	v_lshlrev_b32_e32 v41, 4, v47
	v_lshlrev_b32_e32 v44, 4, v48
	v_lshrrev_b32_e32 v53, 2, v66
	s_clause 0x1
	global_load_dwordx4 v[83:86], v41, s[8:9] offset:16
	global_load_dwordx4 v[87:90], v44, s[8:9] offset:16
	v_lshlrev_b32_e32 v44, 4, v49
	v_and_b32_e32 v41, 3, v67
	v_lshrrev_b32_e32 v54, 2, v69
	v_lshrrev_b32_e32 v55, 2, v68
	v_mul_u32_u24_e32 v50, 12, v50
	global_load_dwordx4 v[91:94], v44, s[8:9] offset:16
	v_lshlrev_b32_e32 v44, 4, v41
	v_mul_u32_u24_e32 v51, 12, v51
	v_mul_u32_u24_e32 v52, 12, v52
	v_mul_u32_u24_e32 v53, 12, v53
	v_mul_u32_u24_e32 v54, 12, v54
	global_load_dwordx4 v[95:98], v44, s[8:9] offset:16
	v_mul_u32_u24_e32 v55, 12, v55
	v_or_b32_e32 v50, v50, v45
	v_or_b32_e32 v46, v51, v46
	;; [unrolled: 1-line block ×6, first 2 shown]
	v_lshl_add_u32 v52, v50, 2, 0
	v_lshl_add_u32 v51, v46, 2, 0
	;; [unrolled: 1-line block ×6, first 2 shown]
	v_lshrrev_b32_e32 v44, 2, v67
	s_waitcnt vmcnt(0) lgkmcnt(0)
	s_barrier
	buffer_gl0_inv
	v_mul_f32_e32 v46, v38, v80
	v_mul_f32_e32 v59, v39, v72
	;; [unrolled: 1-line block ×14, first 2 shown]
	v_fma_f32 v60, v31, v71, -v59
	v_fmac_f32_e32 v55, v37, v73
	v_mul_f32_e32 v59, v20, v82
	v_mul_f32_e32 v37, v16, v82
	;; [unrolled: 1-line block ×7, first 2 shown]
	v_fmac_f32_e32 v61, v39, v71
	v_fma_f32 v62, v29, v73, -v62
	v_mul_f32_e32 v39, v18, v80
	v_mul_f32_e32 v80, v25, v92
	v_fma_f32 v73, v30, v79, -v46
	v_mul_f32_e32 v46, v21, v94
	v_fmac_f32_e32 v63, v38, v79
	v_fma_f32 v74, v28, v81, -v58
	v_mul_f32_e32 v31, v77, v96
	v_mul_f32_e32 v28, v78, v98
	v_fmac_f32_e32 v53, v35, v87
	v_fmac_f32_e32 v47, v33, v89
	v_fma_f32 v38, v18, v79, -v86
	v_fma_f32 v59, v16, v81, -v59
	;; [unrolled: 1-line block ×6, first 2 shown]
	v_mul_f32_e32 v30, v19, v92
	v_mul_f32_e32 v29, v17, v94
	v_fmac_f32_e32 v56, v36, v81
	v_fmac_f32_e32 v57, v34, v83
	;; [unrolled: 1-line block ×3, first 2 shown]
	v_fma_f32 v36, v27, v87, -v76
	v_fma_f32 v58, v23, v89, -v84
	v_fmac_f32_e32 v39, v24, v79
	v_fmac_f32_e32 v37, v20, v81
	v_fma_f32 v32, v19, v91, -v80
	v_fma_f32 v34, v17, v93, -v46
	v_fmac_f32_e32 v31, v42, v95
	v_fmac_f32_e32 v28, v43, v97
	v_add_f32_e32 v17, v73, v74
	v_add_f32_e32 v43, v38, v59
	;; [unrolled: 1-line block ×5, first 2 shown]
	v_fmac_f32_e32 v30, v25, v91
	v_fmac_f32_e32 v29, v21, v93
	v_add_f32_e32 v16, v8, v73
	v_sub_f32_e32 v18, v63, v56
	v_add_f32_e32 v19, v9, v60
	v_add_f32_e32 v22, v6, v71
	v_add_f32_e32 v25, v7, v36
	v_add_f32_e32 v26, v36, v58
	v_add_f32_e32 v42, v4, v38
	v_sub_f32_e32 v46, v39, v37
	v_add_f32_e32 v76, v32, v34
	v_add_f32_e32 v78, v70, v33
	v_sub_f32_e32 v80, v31, v28
	v_fma_f32 v8, -0.5, v17, v8
	v_fma_f32 v4, -0.5, v43, v4
	v_fmac_f32_e32 v70, -0.5, v79
	v_sub_f32_e32 v21, v61, v55
	v_fmac_f32_e32 v9, -0.5, v20
	v_sub_f32_e32 v24, v57, v54
	v_fma_f32 v6, -0.5, v23, v6
	v_sub_f32_e32 v27, v53, v47
	v_add_f32_e32 v75, v5, v32
	v_sub_f32_e32 v77, v30, v29
	v_add_f32_e32 v16, v16, v74
	v_add_f32_e32 v17, v19, v62
	;; [unrolled: 1-line block ×4, first 2 shown]
	v_fmac_f32_e32 v7, -0.5, v26
	v_add_f32_e32 v22, v42, v59
	v_fmac_f32_e32 v5, -0.5, v76
	v_add_f32_e32 v42, v78, v35
	v_fmamk_f32 v25, v18, 0x3f5db3d7, v8
	v_fmamk_f32 v26, v46, 0x3f5db3d7, v4
	v_fmac_f32_e32 v4, 0xbf5db3d7, v46
	v_fmamk_f32 v46, v80, 0x3f5db3d7, v70
	v_fmac_f32_e32 v70, 0xbf5db3d7, v80
	v_fmac_f32_e32 v8, 0xbf5db3d7, v18
	v_fmamk_f32 v18, v21, 0x3f5db3d7, v9
	v_fmac_f32_e32 v9, 0xbf5db3d7, v21
	v_fmamk_f32 v21, v24, 0x3f5db3d7, v6
	v_add_f32_e32 v23, v75, v34
	v_fmac_f32_e32 v6, 0xbf5db3d7, v24
	v_fmamk_f32 v24, v27, 0x3f5db3d7, v7
	v_fmac_f32_e32 v7, 0xbf5db3d7, v27
	v_fmamk_f32 v27, v77, 0x3f5db3d7, v5
	v_fmac_f32_e32 v5, 0xbf5db3d7, v77
	ds_write2_b32 v52, v16, v25 offset1:4
	ds_write_b32 v52, v8 offset:32
	ds_write2_b32 v51, v17, v18 offset1:4
	ds_write_b32 v51, v9 offset:32
	;; [unrolled: 2-line block ×6, first 2 shown]
	s_and_saveexec_b32 s1, s0
	s_cbranch_execz .LBB0_17
; %bb.16:
	v_mul_u32_u24_e32 v4, 12, v44
	v_or_b32_e32 v4, v4, v41
	v_lshl_add_u32 v4, v4, 2, 0
	ds_write2_b32 v4, v42, v46 offset1:4
	ds_write_b32 v4, v70 offset:32
.LBB0_17:
	s_or_b32 exec_lo, exec_lo, s1
	v_add_nc_u32_e32 v16, 0x800, v65
	v_add_nc_u32_e32 v6, 0x400, v65
	;; [unrolled: 1-line block ×6, first 2 shown]
	s_waitcnt lgkmcnt(0)
	s_barrier
	buffer_gl0_inv
	ds_read2_b32 v[4:5], v65 offset1:63
	ds_read2_b32 v[26:27], v6 offset0:164 offset1:227
	ds_read2_b32 v[24:25], v7 offset0:72 offset1:135
	;; [unrolled: 1-line block ×8, first 2 shown]
	s_and_saveexec_b32 s1, s0
	s_cbranch_execz .LBB0_19
; %bb.18:
	ds_read_b32 v42, v65 offset:1512
	ds_read_b32 v46, v65 offset:3192
	;; [unrolled: 1-line block ×3, first 2 shown]
.LBB0_19:
	s_or_b32 exec_lo, exec_lo, s1
	v_add_f32_e32 v43, v63, v56
	v_add_f32_e32 v63, v14, v63
	v_sub_f32_e32 v73, v73, v74
	v_add_f32_e32 v74, v61, v55
	v_sub_f32_e32 v60, v60, v62
	v_fma_f32 v14, -0.5, v43, v14
	v_add_f32_e32 v43, v15, v61
	v_add_f32_e32 v61, v57, v54
	v_fmac_f32_e32 v15, -0.5, v74
	v_sub_f32_e32 v36, v36, v58
	v_sub_f32_e32 v38, v38, v59
	v_add_f32_e32 v55, v43, v55
	v_add_f32_e32 v43, v12, v57
	v_fma_f32 v12, -0.5, v61, v12
	v_sub_f32_e32 v57, v71, v72
	v_fmamk_f32 v61, v60, 0xbf5db3d7, v15
	v_fmac_f32_e32 v15, 0x3f5db3d7, v60
	v_add_f32_e32 v54, v43, v54
	v_add_f32_e32 v43, v53, v47
	v_fmamk_f32 v60, v57, 0xbf5db3d7, v12
	v_fmac_f32_e32 v12, 0x3f5db3d7, v57
	v_add_f32_e32 v57, v39, v37
	v_add_f32_e32 v53, v13, v53
	v_fmac_f32_e32 v13, -0.5, v43
	v_add_f32_e32 v39, v10, v39
	v_sub_f32_e32 v33, v33, v35
	v_fma_f32 v10, -0.5, v57, v10
	v_add_f32_e32 v56, v63, v56
	v_fmamk_f32 v57, v36, 0xbf5db3d7, v13
	v_fmac_f32_e32 v13, 0x3f5db3d7, v36
	v_add_f32_e32 v36, v39, v37
	v_fmamk_f32 v39, v38, 0xbf5db3d7, v10
	v_fmac_f32_e32 v10, 0x3f5db3d7, v38
	v_add_f32_e32 v38, v31, v28
	v_add_f32_e32 v37, v30, v29
	;; [unrolled: 1-line block ×3, first 2 shown]
	v_fmamk_f32 v63, v73, 0xbf5db3d7, v14
	v_add_f32_e32 v53, v53, v47
	v_fmac_f32_e32 v40, -0.5, v38
	v_add_f32_e32 v30, v11, v30
	v_fmac_f32_e32 v11, -0.5, v37
	v_sub_f32_e32 v32, v32, v34
	v_add_f32_e32 v43, v31, v28
	v_fmamk_f32 v47, v33, 0xbf5db3d7, v40
	v_fmac_f32_e32 v40, 0x3f5db3d7, v33
	v_fmac_f32_e32 v14, 0x3f5db3d7, v73
	v_add_f32_e32 v29, v30, v29
	v_fmamk_f32 v30, v32, 0xbf5db3d7, v11
	v_fmac_f32_e32 v11, 0x3f5db3d7, v32
	s_waitcnt lgkmcnt(0)
	s_barrier
	buffer_gl0_inv
	ds_write2_b32 v52, v56, v63 offset1:4
	ds_write_b32 v52, v14 offset:32
	ds_write2_b32 v51, v55, v61 offset1:4
	ds_write_b32 v51, v15 offset:32
	;; [unrolled: 2-line block ×6, first 2 shown]
	s_and_saveexec_b32 s1, s0
	s_cbranch_execz .LBB0_21
; %bb.20:
	v_mul_u32_u24_e32 v10, 12, v44
	v_or_b32_e32 v10, v10, v41
	v_lshl_add_u32 v10, v10, 2, 0
	ds_write2_b32 v10, v43, v47 offset1:4
	ds_write_b32 v10, v40 offset:32
.LBB0_21:
	s_or_b32 exec_lo, exec_lo, s1
	v_add_nc_u32_e32 v28, 0x800, v65
	v_add_nc_u32_e32 v12, 0x400, v65
	;; [unrolled: 1-line block ×6, first 2 shown]
	s_waitcnt lgkmcnt(0)
	s_barrier
	buffer_gl0_inv
	ds_read2_b32 v[10:11], v65 offset1:63
	ds_read2_b32 v[38:39], v12 offset0:164 offset1:227
	ds_read2_b32 v[36:37], v13 offset0:72 offset1:135
	;; [unrolled: 1-line block ×8, first 2 shown]
	s_and_saveexec_b32 s1, s0
	s_cbranch_execz .LBB0_23
; %bb.22:
	ds_read_b32 v43, v65 offset:1512
	ds_read_b32 v47, v65 offset:3192
	ds_read_b32 v40, v65 offset:4872
.LBB0_23:
	s_or_b32 exec_lo, exec_lo, s1
	v_and_b32_e32 v44, 0xff, v0
	v_and_b32_e32 v41, 0xff, v1
	;; [unrolled: 1-line block ×3, first 2 shown]
	v_mov_b32_e32 v53, 0xaaab
	v_mov_b32_e32 v50, 4
	v_mul_lo_u16 v44, 0xab, v44
	v_mul_lo_u16 v48, 0xab, v41
	;; [unrolled: 1-line block ×3, first 2 shown]
	v_mul_u32_u24_sdwa v57, v68, v53 dst_sel:DWORD dst_unused:UNUSED_PAD src0_sel:WORD_0 src1_sel:DWORD
	v_lshrrev_b16 v49, 11, v44
	v_lshrrev_b16 v52, 11, v48
	v_and_b32_e32 v44, 0xff, v66
	v_lshrrev_b16 v51, 11, v51
	v_lshrrev_b32_e32 v57, 19, v57
	v_mul_lo_u16 v48, v49, 12
	v_mul_lo_u16 v55, v52, 12
	;; [unrolled: 1-line block ×4, first 2 shown]
	v_sub_nc_u16 v56, v0, v48
	v_mul_u32_u24_sdwa v48, v69, v53 dst_sel:DWORD dst_unused:UNUSED_PAD src0_sel:WORD_0 src1_sel:DWORD
	v_sub_nc_u16 v55, v1, v55
	v_lshrrev_b16 v54, 11, v54
	v_sub_nc_u16 v61, v64, v58
	v_lshlrev_b32_sdwa v59, v50, v56 dst_sel:DWORD dst_unused:UNUSED_PAD src0_sel:DWORD src1_sel:BYTE_0
	v_lshrrev_b32_e32 v60, 19, v48
	v_lshlrev_b32_sdwa v48, v50, v55 dst_sel:DWORD dst_unused:UNUSED_PAD src0_sel:DWORD src1_sel:BYTE_0
	v_mul_lo_u16 v58, v54, 12
	v_mul_u32_u24_sdwa v53, v67, v53 dst_sel:DWORD dst_unused:UNUSED_PAD src0_sel:WORD_0 src1_sel:DWORD
	s_clause 0x1
	global_load_dwordx4 v[71:74], v59, s[8:9] offset:80
	global_load_dwordx4 v[75:78], v48, s[8:9] offset:80
	v_lshlrev_b32_sdwa v59, v50, v61 dst_sel:DWORD dst_unused:UNUSED_PAD src0_sel:DWORD src1_sel:BYTE_0
	v_mul_lo_u16 v48, v60, 12
	v_sub_nc_u16 v62, v66, v58
	v_lshrrev_b32_e32 v53, 19, v53
	v_mul_lo_u16 v58, v57, 12
	global_load_dwordx4 v[79:82], v59, s[8:9] offset:80
	v_sub_nc_u16 v59, v69, v48
	v_lshlrev_b32_sdwa v48, v50, v62 dst_sel:DWORD dst_unused:UNUSED_PAD src0_sel:DWORD src1_sel:BYTE_0
	v_mul_lo_u16 v63, v53, 12
	v_sub_nc_u16 v68, v68, v58
	v_mul_u32_u24_e32 v57, 0x90, v57
	v_lshlrev_b32_sdwa v69, v50, v59 dst_sel:DWORD dst_unused:UNUSED_PAD src0_sel:DWORD src1_sel:WORD_0
	global_load_dwordx4 v[83:86], v48, s[8:9] offset:80
	v_mul_u32_u24_e32 v60, 0x90, v60
	v_lshlrev_b32_sdwa v58, v50, v68 dst_sel:DWORD dst_unused:UNUSED_PAD src0_sel:DWORD src1_sel:WORD_0
	global_load_dwordx4 v[87:90], v69, s[8:9] offset:80
	v_sub_nc_u16 v48, v67, v63
	v_lshlrev_b32_sdwa v50, v50, v48 dst_sel:DWORD dst_unused:UNUSED_PAD src0_sel:DWORD src1_sel:WORD_0
	s_clause 0x1
	global_load_dwordx4 v[91:94], v58, s[8:9] offset:80
	global_load_dwordx4 v[95:98], v50, s[8:9] offset:80
	v_mov_b32_e32 v50, 0x90
	v_mov_b32_e32 v58, 2
	s_waitcnt vmcnt(0) lgkmcnt(0)
	s_barrier
	buffer_gl0_inv
	v_mul_u32_u24_sdwa v63, v49, v50 dst_sel:DWORD dst_unused:UNUSED_PAD src0_sel:WORD_0 src1_sel:DWORD
	v_mul_u32_u24_sdwa v67, v52, v50 dst_sel:DWORD dst_unused:UNUSED_PAD src0_sel:WORD_0 src1_sel:DWORD
	;; [unrolled: 1-line block ×4, first 2 shown]
	v_mul_lo_u16 v49, v53, 36
	v_lshlrev_b32_sdwa v52, v58, v56 dst_sel:DWORD dst_unused:UNUSED_PAD src0_sel:DWORD src1_sel:BYTE_0
	v_lshlrev_b32_sdwa v53, v58, v55 dst_sel:DWORD dst_unused:UNUSED_PAD src0_sel:DWORD src1_sel:BYTE_0
	;; [unrolled: 1-line block ×4, first 2 shown]
	v_lshlrev_b32_sdwa v61, v58, v68 dst_sel:DWORD dst_unused:UNUSED_PAD src0_sel:DWORD src1_sel:WORD_0
	v_lshlrev_b32_sdwa v59, v58, v59 dst_sel:DWORD dst_unused:UNUSED_PAD src0_sel:DWORD src1_sel:WORD_0
	v_add3_u32 v52, 0, v63, v52
	v_add3_u32 v55, 0, v67, v53
	;; [unrolled: 1-line block ×6, first 2 shown]
	v_mul_f32_e32 v56, v38, v72
	v_mul_f32_e32 v63, v26, v72
	;; [unrolled: 1-line block ×12, first 2 shown]
	v_fma_f32 v69, v26, v71, -v56
	v_fmac_f32_e32 v63, v38, v71
	v_fma_f32 v71, v24, v73, -v62
	v_fmac_f32_e32 v57, v36, v73
	v_mul_f32_e32 v56, v35, v84
	v_mul_f32_e32 v62, v23, v84
	;; [unrolled: 1-line block ×3, first 2 shown]
	v_fma_f32 v68, v27, v75, -v68
	v_mul_f32_e32 v78, v30, v88
	v_fmac_f32_e32 v67, v39, v75
	v_mul_f32_e32 v75, v28, v90
	v_mul_f32_e32 v26, v21, v86
	;; [unrolled: 1-line block ×4, first 2 shown]
	v_fma_f32 v25, v25, v77, -v72
	v_fmac_f32_e32 v59, v37, v77
	v_mul_f32_e32 v80, v31, v92
	v_mul_f32_e32 v82, v47, v96
	;; [unrolled: 1-line block ×7, first 2 shown]
	v_fma_f32 v72, v22, v79, -v74
	v_fmac_f32_e32 v60, v34, v79
	v_fma_f32 v34, v20, v81, -v76
	v_fma_f32 v20, v23, v83, -v56
	;; [unrolled: 1-line block ×8, first 2 shown]
	v_mul_f32_e32 v39, v17, v94
	v_fmac_f32_e32 v36, v30, v87
	v_fma_f32 v17, v17, v93, -v77
	v_fmac_f32_e32 v37, v47, v95
	v_fmac_f32_e32 v38, v40, v97
	v_add_f32_e32 v30, v69, v71
	v_add_f32_e32 v80, v18, v19
	v_fmac_f32_e32 v26, v33, v85
	v_add_f32_e32 v33, v68, v25
	v_fmac_f32_e32 v61, v32, v81
	;; [unrolled: 2-line block ×3, first 2 shown]
	v_fmac_f32_e32 v27, v28, v89
	v_fmac_f32_e32 v24, v31, v91
	;; [unrolled: 1-line block ×3, first 2 shown]
	v_add_f32_e32 v29, v4, v69
	v_sub_f32_e32 v31, v63, v57
	v_add_f32_e32 v40, v6, v72
	v_add_f32_e32 v56, v7, v20
	;; [unrolled: 1-line block ×6, first 2 shown]
	v_sub_f32_e32 v28, v37, v38
	v_fma_f32 v30, -0.5, v30, v4
	v_fma_f32 v4, -0.5, v80, v42
	v_add_f32_e32 v32, v5, v68
	v_sub_f32_e32 v35, v67, v59
	v_fmac_f32_e32 v5, -0.5, v33
	v_sub_f32_e32 v47, v60, v61
	v_fma_f32 v6, -0.5, v46, v6
	v_sub_f32_e32 v73, v62, v26
	v_sub_f32_e32 v76, v36, v27
	v_add_f32_e32 v77, v9, v16
	v_sub_f32_e32 v79, v24, v39
	v_add_f32_e32 v29, v29, v71
	v_add_f32_e32 v33, v40, v34
	;; [unrolled: 1-line block ×3, first 2 shown]
	v_fmac_f32_e32 v7, -0.5, v70
	v_add_f32_e32 v46, v74, v23
	v_fma_f32 v8, -0.5, v75, v8
	v_fmac_f32_e32 v9, -0.5, v78
	v_fmamk_f32 v74, v31, 0x3f5db3d7, v30
	v_fmamk_f32 v56, v28, 0xbf5db3d7, v4
	v_fmac_f32_e32 v30, 0xbf5db3d7, v31
	v_add_f32_e32 v32, v32, v25
	v_fmamk_f32 v31, v35, 0x3f5db3d7, v5
	v_fmac_f32_e32 v5, 0xbf5db3d7, v35
	v_fmamk_f32 v35, v47, 0x3f5db3d7, v6
	v_add_f32_e32 v70, v77, v17
	v_fmac_f32_e32 v6, 0xbf5db3d7, v47
	v_fmamk_f32 v47, v73, 0x3f5db3d7, v7
	v_fmac_f32_e32 v7, 0xbf5db3d7, v73
	v_fmamk_f32 v73, v76, 0x3f5db3d7, v8
	;; [unrolled: 2-line block ×3, first 2 shown]
	v_fmac_f32_e32 v9, 0xbf5db3d7, v79
	ds_write2_b32 v52, v29, v74 offset1:12
	ds_write_b32 v52, v30 offset:96
	ds_write2_b32 v55, v32, v31 offset1:12
	ds_write_b32 v55, v5 offset:96
	;; [unrolled: 2-line block ×6, first 2 shown]
	s_and_saveexec_b32 s1, s0
	s_cbranch_execz .LBB0_25
; %bb.24:
	v_mul_f32_e32 v5, 0x3f5db3d7, v28
	v_add_f32_e32 v6, v42, v18
	v_lshlrev_b32_sdwa v7, v58, v48 dst_sel:DWORD dst_unused:UNUSED_PAD src0_sel:DWORD src1_sel:WORD_0
	v_lshlrev_b32_sdwa v8, v58, v49 dst_sel:DWORD dst_unused:UNUSED_PAD src0_sel:DWORD src1_sel:WORD_0
	v_add_f32_e32 v4, v5, v4
	v_add_f32_e32 v5, v6, v19
	v_add3_u32 v6, 0, v7, v8
	ds_write2_b32 v6, v5, v4 offset1:12
	ds_write_b32 v6, v56 offset:96
.LBB0_25:
	s_or_b32 exec_lo, exec_lo, s1
	v_add_f32_e32 v4, v63, v57
	v_add_f32_e32 v5, v10, v63
	;; [unrolled: 1-line block ×3, first 2 shown]
	v_sub_f32_e32 v6, v69, v71
	v_add_f32_e32 v8, v60, v61
	v_fma_f32 v40, -0.5, v4, v10
	v_add_f32_e32 v4, v11, v67
	v_add_f32_e32 v42, v5, v57
	v_fmac_f32_e32 v11, -0.5, v7
	v_sub_f32_e32 v5, v68, v25
	v_fmamk_f32 v46, v6, 0xbf5db3d7, v40
	v_add_f32_e32 v47, v4, v59
	v_add_f32_e32 v4, v12, v60
	v_fmac_f32_e32 v40, 0x3f5db3d7, v6
	v_fma_f32 v58, -0.5, v8, v12
	v_sub_f32_e32 v6, v72, v34
	v_fmamk_f32 v59, v5, 0xbf5db3d7, v11
	v_fmac_f32_e32 v11, 0x3f5db3d7, v5
	v_add_f32_e32 v60, v4, v61
	v_add_f32_e32 v4, v62, v26
	;; [unrolled: 1-line block ×3, first 2 shown]
	v_fmamk_f32 v61, v6, 0xbf5db3d7, v58
	v_fmac_f32_e32 v58, 0x3f5db3d7, v6
	v_add_f32_e32 v6, v36, v27
	v_fmac_f32_e32 v13, -0.5, v4
	v_sub_f32_e32 v4, v20, v22
	v_add_f32_e32 v62, v5, v26
	v_add_f32_e32 v5, v14, v36
	v_fma_f32 v63, -0.5, v6, v14
	v_sub_f32_e32 v6, v21, v23
	v_fmamk_f32 v67, v4, 0xbf5db3d7, v13
	v_fmac_f32_e32 v13, 0x3f5db3d7, v4
	v_add_f32_e32 v68, v5, v27
	v_add_f32_e32 v4, v24, v39
	v_add_f32_e32 v5, v37, v38
	v_add_nc_u32_e32 v8, 0x200, v65
	v_add_nc_u32_e32 v33, 0x400, v65
	;; [unrolled: 1-line block ×6, first 2 shown]
	v_fmamk_f32 v69, v6, 0xbf5db3d7, v63
	v_fmac_f32_e32 v63, 0x3f5db3d7, v6
	v_add_nc_u32_e32 v6, 0xe00, v65
	v_add_nc_u32_e32 v36, 0x1000, v65
	v_add_f32_e32 v57, v15, v24
	v_fmac_f32_e32 v15, -0.5, v4
	v_sub_f32_e32 v70, v16, v17
	v_fma_f32 v12, -0.5, v5, v43
	v_sub_f32_e32 v14, v18, v19
	s_waitcnt lgkmcnt(0)
	s_barrier
	buffer_gl0_inv
	ds_read2_b32 v[9:10], v65 offset1:63
	ds_read2_b32 v[22:23], v8 offset0:124 offset1:187
	ds_read2_b32 v[20:21], v7 offset0:120 offset1:183
	ds_read2_b32 v[18:19], v32 offset0:116 offset1:179
	ds_read2_b32 v[16:17], v6 offset0:112 offset1:175
	ds_read2_b32 v[4:5], v65 offset0:126 offset1:189
	ds_read2_b32 v[30:31], v33 offset0:122 offset1:185
	ds_read2_b32 v[28:29], v34 offset0:118 offset1:181
	ds_read2_b32 v[26:27], v35 offset0:114 offset1:177
	ds_read2_b32 v[24:25], v36 offset0:110 offset1:173
	v_add_f32_e32 v39, v57, v39
	v_fmamk_f32 v57, v14, 0x3f5db3d7, v12
	v_fmamk_f32 v71, v70, 0xbf5db3d7, v15
	v_fmac_f32_e32 v15, 0x3f5db3d7, v70
	s_waitcnt lgkmcnt(0)
	s_barrier
	buffer_gl0_inv
	ds_write2_b32 v52, v42, v46 offset1:12
	ds_write_b32 v52, v40 offset:96
	ds_write2_b32 v55, v47, v59 offset1:12
	ds_write_b32 v55, v11 offset:96
	;; [unrolled: 2-line block ×6, first 2 shown]
	s_and_saveexec_b32 s1, s0
	s_cbranch_execz .LBB0_27
; %bb.26:
	v_mov_b32_e32 v11, 2
	v_mul_f32_e32 v13, 0x3f5db3d7, v14
	v_add_f32_e32 v14, v43, v37
	v_lshlrev_b32_sdwa v15, v11, v48 dst_sel:DWORD dst_unused:UNUSED_PAD src0_sel:DWORD src1_sel:WORD_0
	v_lshlrev_b32_sdwa v11, v11, v49 dst_sel:DWORD dst_unused:UNUSED_PAD src0_sel:DWORD src1_sel:WORD_0
	v_add_f32_e32 v14, v14, v38
	v_sub_f32_e32 v12, v12, v13
	v_add3_u32 v11, 0, v15, v11
	ds_write2_b32 v11, v14, v12 offset1:12
	ds_write_b32 v11, v57 offset:96
.LBB0_27:
	s_or_b32 exec_lo, exec_lo, s1
	v_mul_lo_u16 v11, v45, 57
	v_mul_lo_u16 v12, v44, 57
	v_cmp_gt_u32_e64 s0, 36, v0
	v_mov_b32_e32 v13, 5
	s_waitcnt lgkmcnt(0)
	v_lshrrev_b16 v37, 11, v11
	v_mul_lo_u16 v11, v41, 57
	v_lshrrev_b16 v38, 11, v12
	s_barrier
	buffer_gl0_inv
	v_mul_lo_u16 v12, v37, 36
	v_lshrrev_b16 v39, 11, v11
	v_mul_lo_u16 v11, v38, 36
	v_mov_b32_e32 v43, 0x2d0
	v_mov_b32_e32 v44, 2
	v_sub_nc_u16 v40, v64, v12
	v_mul_lo_u16 v12, v39, 36
	v_sub_nc_u16 v41, v66, v11
	v_subrev_nc_u32_e32 v11, 36, v0
	v_mul_u32_u24_sdwa v39, v39, v43 dst_sel:DWORD dst_unused:UNUSED_PAD src0_sel:WORD_0 src1_sel:DWORD
	v_lshlrev_b32_sdwa v14, v13, v40 dst_sel:DWORD dst_unused:UNUSED_PAD src0_sel:DWORD src1_sel:BYTE_0
	v_sub_nc_u16 v42, v1, v12
	v_lshlrev_b32_sdwa v15, v13, v41 dst_sel:DWORD dst_unused:UNUSED_PAD src0_sel:DWORD src1_sel:BYTE_0
	v_cndmask_b32_e64 v11, v11, v0, s0
	v_mov_b32_e32 v12, 0
	global_load_dwordx4 v[48:51], v14, s[8:9] offset:272
	v_lshlrev_b32_sdwa v13, v13, v42 dst_sel:DWORD dst_unused:UNUSED_PAD src0_sel:DWORD src1_sel:BYTE_0
	global_load_dwordx4 v[59:62], v15, s[8:9] offset:272
	v_lshlrev_b32_e32 v11, 2, v11
	v_mul_u32_u24_sdwa v37, v37, v43 dst_sel:DWORD dst_unused:UNUSED_PAD src0_sel:WORD_0 src1_sel:DWORD
	v_mul_u32_u24_sdwa v43, v38, v43 dst_sel:DWORD dst_unused:UNUSED_PAD src0_sel:WORD_0 src1_sel:DWORD
	s_clause 0x1
	global_load_dwordx4 v[70:73], v13, s[8:9] offset:272
	global_load_dwordx4 v[74:77], v13, s[8:9] offset:288
	v_lshlrev_b64 v[12:13], 3, v[11:12]
	s_clause 0x1
	global_load_dwordx4 v[78:81], v14, s[8:9] offset:288
	global_load_dwordx4 v[82:85], v15, s[8:9] offset:288
	v_lshlrev_b32_sdwa v38, v44, v42 dst_sel:DWORD dst_unused:UNUSED_PAD src0_sel:DWORD src1_sel:BYTE_0
	v_lshlrev_b32_sdwa v42, v44, v40 dst_sel:DWORD dst_unused:UNUSED_PAD src0_sel:DWORD src1_sel:BYTE_0
	;; [unrolled: 1-line block ×3, first 2 shown]
	v_add_co_u32 v12, s0, s8, v12
	v_add_co_ci_u32_e64 v13, s0, s9, v13, s0
	s_clause 0x1
	global_load_dwordx4 v[86:89], v[12:13], off offset:272
	global_load_dwordx4 v[90:93], v[12:13], off offset:288
	ds_read2_b32 v[12:13], v33 offset0:122 offset1:185
	ds_read2_b32 v[94:95], v34 offset0:118 offset1:181
	ds_read2_b32 v[14:15], v65 offset1:63
	ds_read2_b32 v[96:97], v8 offset0:124 offset1:187
	ds_read2_b32 v[98:99], v7 offset0:120 offset1:183
	;; [unrolled: 1-line block ×7, first 2 shown]
	v_cmp_lt_u32_e64 s0, 35, v0
	v_add3_u32 v39, 0, v39, v38
	v_add3_u32 v38, 0, v37, v42
	;; [unrolled: 1-line block ×3, first 2 shown]
	s_waitcnt vmcnt(0) lgkmcnt(0)
	v_cndmask_b32_e64 v8, 0, 0x2d0, s0
	s_barrier
	buffer_gl0_inv
	v_cmp_gt_u32_e64 s0, 54, v0
	v_add3_u32 v40, 0, v8, v11
	v_mul_f32_e32 v45, v30, v49
	v_mul_f32_e32 v11, v94, v51
	;; [unrolled: 1-line block ×19, first 2 shown]
	v_fmac_f32_e32 v45, v12, v48
	v_fma_f32 v51, v28, v50, -v11
	v_mul_f32_e32 v11, v96, v87
	v_mul_f32_e32 v12, v98, v89
	v_fmac_f32_e32 v41, v13, v59
	v_mul_f32_e32 v13, v100, v91
	v_mul_f32_e32 v28, v102, v93
	;; [unrolled: 1-line block ×4, first 2 shown]
	v_fma_f32 v52, v30, v48, -v8
	v_fmac_f32_e32 v46, v94, v50
	v_mul_f32_e32 v8, v107, v85
	v_mul_f32_e32 v43, v25, v85
	;; [unrolled: 1-line block ×3, first 2 shown]
	v_fma_f32 v50, v31, v59, -v63
	v_mul_f32_e32 v69, v20, v89
	v_fma_f32 v48, v29, v61, -v60
	v_mul_f32_e32 v68, v16, v93
	v_fmac_f32_e32 v42, v95, v61
	v_fma_f32 v62, v23, v70, -v62
	v_fmac_f32_e32 v53, v97, v70
	v_fma_f32 v60, v21, v72, -v71
	v_fma_f32 v61, v19, v74, -v73
	;; [unrolled: 1-line block ×8, first 2 shown]
	v_mul_f32_e32 v67, v18, v91
	v_fma_f32 v16, v16, v92, -v28
	v_mul_f32_e32 v44, v27, v83
	v_fmac_f32_e32 v54, v99, v72
	v_fma_f32 v17, v27, v82, -v81
	v_fma_f32 v23, v25, v84, -v8
	v_fmac_f32_e32 v43, v107, v84
	v_fmac_f32_e32 v66, v96, v86
	v_fmac_f32_e32 v68, v102, v92
	v_add_f32_e32 v8, v10, v62
	v_add_f32_e32 v11, v60, v61
	v_sub_f32_e32 v12, v62, v60
	v_sub_f32_e32 v13, v63, v61
	v_add_f32_e32 v24, v62, v63
	v_sub_f32_e32 v25, v60, v62
	v_sub_f32_e32 v26, v61, v63
	;; [unrolled: 3-line block ×3, first 2 shown]
	v_add_f32_e32 v72, v52, v59
	v_add_f32_e32 v75, v5, v50
	;; [unrolled: 1-line block ×4, first 2 shown]
	v_fmac_f32_e32 v55, v101, v74
	v_fmac_f32_e32 v69, v98, v88
	;; [unrolled: 1-line block ×3, first 2 shown]
	v_sub_f32_e32 v73, v51, v52
	v_sub_f32_e32 v74, v21, v59
	v_add_f32_e32 v90, v22, v16
	v_fmac_f32_e32 v58, v103, v76
	v_fmac_f32_e32 v47, v104, v78
	;; [unrolled: 1-line block ×4, first 2 shown]
	v_add_f32_e32 v27, v4, v52
	v_add_f32_e32 v76, v48, v17
	;; [unrolled: 1-line block ×3, first 2 shown]
	v_sub_f32_e32 v86, v66, v68
	v_add_f32_e32 v93, v12, v13
	v_fma_f32 v94, -0.5, v11, v10
	v_fmac_f32_e32 v10, -0.5, v24
	v_add_f32_e32 v24, v25, v26
	v_add_f32_e32 v25, v31, v71
	;; [unrolled: 1-line block ×3, first 2 shown]
	v_fma_f32 v8, -0.5, v28, v4
	v_fma_f32 v4, -0.5, v72, v4
	v_add_f32_e32 v28, v75, v48
	v_add_f32_e32 v71, v84, v20
	v_fma_f32 v72, -0.5, v85, v9
	v_sub_f32_e32 v87, v69, v67
	v_add_f32_e32 v26, v73, v74
	v_fma_f32 v74, -0.5, v90, v9
	v_sub_f32_e32 v18, v53, v58
	v_sub_f32_e32 v79, v50, v48
	;; [unrolled: 1-line block ×12, first 2 shown]
	v_add_f32_e32 v13, v27, v51
	v_fma_f32 v11, -0.5, v76, v5
	v_fmac_f32_e32 v5, -0.5, v81
	v_add_f32_e32 v9, v28, v17
	v_add_f32_e32 v28, v71, v70
	v_fmamk_f32 v71, v86, 0x3f737871, v72
	v_sub_f32_e32 v91, v20, v22
	v_sub_f32_e32 v92, v70, v16
	v_fmamk_f32 v84, v87, 0xbf737871, v74
	v_fmac_f32_e32 v74, 0x3f737871, v87
	v_fmac_f32_e32 v72, 0xbf737871, v86
	v_add_f32_e32 v27, v79, v80
	v_fmamk_f32 v79, v18, 0x3f737871, v94
	v_fmamk_f32 v80, v19, 0xbf737871, v10
	v_fmac_f32_e32 v10, 0x3f737871, v19
	v_add_f32_e32 v31, v82, v83
	v_add_f32_e32 v73, v88, v89
	v_add_f32_e32 v76, v12, v61
	v_fmac_f32_e32 v94, 0xbf737871, v18
	v_add_f32_e32 v81, v13, v21
	v_fmamk_f32 v82, v29, 0x3f737871, v8
	v_fmac_f32_e32 v8, 0xbf737871, v29
	v_fmamk_f32 v83, v30, 0xbf737871, v4
	v_fmac_f32_e32 v4, 0x3f737871, v30
	;; [unrolled: 2-line block ×4, first 2 shown]
	v_fmac_f32_e32 v71, 0x3f167918, v87
	v_add_f32_e32 v75, v91, v92
	v_fmac_f32_e32 v84, 0x3f167918, v86
	v_fmac_f32_e32 v74, 0xbf167918, v86
	;; [unrolled: 1-line block ×15, first 2 shown]
	v_add_f32_e32 v28, v28, v16
	v_fmac_f32_e32 v71, 0x3e9e377a, v73
	v_fmac_f32_e32 v84, 0x3e9e377a, v75
	;; [unrolled: 1-line block ×4, first 2 shown]
	v_add_f32_e32 v18, v76, v63
	v_fmac_f32_e32 v79, 0x3e9e377a, v93
	v_add_f32_e32 v19, v81, v59
	v_fmac_f32_e32 v80, 0x3e9e377a, v24
	v_fmac_f32_e32 v10, 0x3e9e377a, v24
	v_add_f32_e32 v9, v9, v23
	v_fmac_f32_e32 v94, 0x3e9e377a, v93
	v_fmac_f32_e32 v82, 0x3e9e377a, v25
	;; [unrolled: 1-line block ×9, first 2 shown]
	ds_write2_b32 v40, v28, v71 offset1:36
	ds_write2_b32 v40, v84, v74 offset0:72 offset1:108
	ds_write_b32 v40, v72 offset:576
	ds_write2_b32 v39, v18, v79 offset1:36
	ds_write2_b32 v39, v80, v10 offset0:72 offset1:108
	ds_write_b32 v39, v94 offset:576
	;; [unrolled: 3-line block ×4, first 2 shown]
	s_waitcnt lgkmcnt(0)
	s_barrier
	buffer_gl0_inv
	ds_read2_b32 v[18:19], v65 offset1:63
	ds_read2_b32 v[30:31], v65 offset0:180 offset1:243
	ds_read2_b32 v[24:25], v33 offset0:104 offset1:167
	;; [unrolled: 1-line block ×6, first 2 shown]
	s_and_saveexec_b32 s1, s0
	s_cbranch_execz .LBB0_29
; %bb.28:
	v_add_nc_u32_e32 v4, 0xd00, v65
	v_add_nc_u32_e32 v5, 0x100, v65
	;; [unrolled: 1-line block ×3, first 2 shown]
	ds_read2_b32 v[10:11], v4 offset0:14 offset1:194
	ds_read2_b32 v[8:9], v5 offset0:62 offset1:242
	;; [unrolled: 1-line block ×3, first 2 shown]
	ds_read_b32 v56, v65 offset:4824
	s_waitcnt lgkmcnt(3)
	v_mov_b32_e32 v5, v10
.LBB0_29:
	s_or_b32 exec_lo, exec_lo, s1
	v_add_f32_e32 v10, v14, v66
	v_add_f32_e32 v4, v69, v67
	v_sub_f32_e32 v16, v22, v16
	v_sub_f32_e32 v20, v20, v70
	;; [unrolled: 1-line block ×3, first 2 shown]
	v_add_f32_e32 v10, v10, v69
	v_fma_f32 v4, -0.5, v4, v14
	v_sub_f32_e32 v36, v68, v67
	v_add_f32_e32 v70, v66, v68
	v_sub_f32_e32 v66, v69, v66
	v_add_f32_e32 v10, v10, v67
	v_fmamk_f32 v69, v16, 0xbf737871, v4
	v_add_f32_e32 v22, v22, v36
	v_fma_f32 v14, -0.5, v70, v14
	v_fmac_f32_e32 v4, 0x3f737871, v16
	v_sub_f32_e32 v36, v67, v68
	v_add_f32_e32 v10, v10, v68
	v_add_f32_e32 v68, v15, v53
	v_fmac_f32_e32 v69, 0xbf167918, v20
	v_fmamk_f32 v67, v20, 0x3f737871, v14
	v_fmac_f32_e32 v4, 0x3f167918, v20
	v_add_f32_e32 v70, v54, v55
	v_fmac_f32_e32 v14, 0xbf737871, v20
	v_add_f32_e32 v20, v68, v54
	;; [unrolled: 2-line block ×3, first 2 shown]
	v_fma_f32 v66, -0.5, v70, v15
	v_sub_f32_e32 v62, v62, v63
	v_fmac_f32_e32 v14, 0x3f167918, v16
	v_add_f32_e32 v16, v20, v55
	v_fmac_f32_e32 v69, 0x3e9e377a, v22
	v_fmac_f32_e32 v4, 0x3e9e377a, v22
	;; [unrolled: 1-line block ×3, first 2 shown]
	v_fmamk_f32 v20, v62, 0xbf737871, v66
	v_add_f32_e32 v22, v53, v58
	v_sub_f32_e32 v60, v60, v61
	v_sub_f32_e32 v61, v53, v54
	;; [unrolled: 1-line block ×3, first 2 shown]
	v_fmac_f32_e32 v14, 0x3e9e377a, v36
	v_add_f32_e32 v36, v16, v58
	v_fmac_f32_e32 v66, 0x3f737871, v62
	v_sub_f32_e32 v16, v54, v53
	v_sub_f32_e32 v53, v55, v58
	v_add_f32_e32 v54, v46, v47
	v_fmac_f32_e32 v15, -0.5, v22
	v_fmac_f32_e32 v20, 0xbf167918, v60
	v_add_f32_e32 v22, v61, v63
	v_fmac_f32_e32 v66, 0x3f167918, v60
	v_add_f32_e32 v53, v16, v53
	v_add_f32_e32 v55, v6, v45
	v_fma_f32 v16, -0.5, v54, v6
	v_sub_f32_e32 v52, v52, v59
	v_fmamk_f32 v61, v60, 0x3f737871, v15
	v_fmac_f32_e32 v20, 0x3e9e377a, v22
	v_fmac_f32_e32 v15, 0xbf737871, v60
	;; [unrolled: 1-line block ×3, first 2 shown]
	v_add_f32_e32 v22, v55, v46
	v_fmamk_f32 v54, v52, 0xbf737871, v16
	v_sub_f32_e32 v21, v51, v21
	v_sub_f32_e32 v51, v45, v46
	;; [unrolled: 1-line block ×3, first 2 shown]
	v_fmac_f32_e32 v16, 0x3f737871, v52
	v_add_f32_e32 v58, v45, v49
	v_fmac_f32_e32 v61, 0xbf167918, v62
	v_fmac_f32_e32 v15, 0x3f167918, v62
	v_add_f32_e32 v22, v22, v47
	v_fmac_f32_e32 v54, 0xbf167918, v21
	v_add_f32_e32 v51, v51, v55
	v_fmac_f32_e32 v16, 0x3f167918, v21
	v_fma_f32 v6, -0.5, v58, v6
	v_sub_f32_e32 v45, v46, v45
	v_sub_f32_e32 v46, v47, v49
	v_fmac_f32_e32 v61, 0x3e9e377a, v53
	v_fmac_f32_e32 v15, 0x3e9e377a, v53
	v_add_f32_e32 v53, v22, v49
	v_fmac_f32_e32 v54, 0x3e9e377a, v51
	v_fmac_f32_e32 v16, 0x3e9e377a, v51
	v_fmamk_f32 v51, v21, 0x3f737871, v6
	v_add_f32_e32 v22, v42, v44
	v_fmac_f32_e32 v6, 0xbf737871, v21
	v_sub_f32_e32 v49, v50, v23
	v_add_f32_e32 v23, v45, v46
	v_add_f32_e32 v46, v41, v43
	;; [unrolled: 1-line block ×3, first 2 shown]
	v_fma_f32 v21, -0.5, v22, v7
	v_fmac_f32_e32 v51, 0xbf167918, v52
	v_fmac_f32_e32 v6, 0x3f167918, v52
	v_sub_f32_e32 v17, v48, v17
	v_fmac_f32_e32 v7, -0.5, v46
	v_add_f32_e32 v45, v47, v42
	v_fmamk_f32 v22, v49, 0xbf737871, v21
	v_fmac_f32_e32 v51, 0x3e9e377a, v23
	v_fmac_f32_e32 v6, 0x3e9e377a, v23
	v_sub_f32_e32 v46, v41, v42
	v_sub_f32_e32 v47, v43, v44
	v_fmac_f32_e32 v21, 0x3f737871, v49
	v_fmamk_f32 v23, v17, 0x3f737871, v7
	v_sub_f32_e32 v41, v42, v41
	v_sub_f32_e32 v42, v44, v43
	v_fmac_f32_e32 v7, 0xbf737871, v17
	v_add_f32_e32 v45, v45, v44
	v_fmac_f32_e32 v22, 0xbf167918, v17
	v_add_f32_e32 v44, v46, v47
	v_fmac_f32_e32 v21, 0x3f167918, v17
	v_fmac_f32_e32 v23, 0xbf167918, v49
	v_add_f32_e32 v41, v41, v42
	v_fmac_f32_e32 v7, 0x3f167918, v49
	v_add_f32_e32 v17, v45, v43
	v_fmac_f32_e32 v22, 0x3e9e377a, v44
	v_fmac_f32_e32 v21, 0x3e9e377a, v44
	;; [unrolled: 1-line block ×4, first 2 shown]
	s_waitcnt lgkmcnt(0)
	s_barrier
	buffer_gl0_inv
	ds_write2_b32 v40, v10, v69 offset1:36
	ds_write2_b32 v40, v67, v14 offset0:72 offset1:108
	ds_write_b32 v40, v4 offset:576
	ds_write2_b32 v39, v36, v20 offset1:36
	ds_write2_b32 v39, v61, v15 offset0:72 offset1:108
	ds_write_b32 v39, v66 offset:576
	;; [unrolled: 3-line block ×4, first 2 shown]
	v_add_nc_u32_e32 v4, 0x400, v65
	v_add_nc_u32_e32 v6, 0x800, v65
	;; [unrolled: 1-line block ×5, first 2 shown]
	s_waitcnt lgkmcnt(0)
	s_barrier
	buffer_gl0_inv
	ds_read2_b32 v[14:15], v65 offset1:63
	ds_read2_b32 v[44:45], v65 offset0:180 offset1:243
	ds_read2_b32 v[46:47], v4 offset0:104 offset1:167
	;; [unrolled: 1-line block ×6, first 2 shown]
	s_and_saveexec_b32 s1, s0
	s_cbranch_execz .LBB0_31
; %bb.30:
	v_add_nc_u32_e32 v4, 0xd00, v65
	v_add_nc_u32_e32 v6, 0x100, v65
	;; [unrolled: 1-line block ×3, first 2 shown]
	ds_read2_b32 v[20:21], v4 offset0:14 offset1:194
	ds_read2_b32 v[16:17], v6 offset0:62 offset1:242
	;; [unrolled: 1-line block ×3, first 2 shown]
	ds_read_b32 v57, v65 offset:4824
	s_waitcnt lgkmcnt(3)
	v_mov_b32_e32 v7, v20
.LBB0_31:
	s_or_b32 exec_lo, exec_lo, s1
	s_and_saveexec_b32 s1, vcc_lo
	s_cbranch_execz .LBB0_34
; %bb.32:
	v_mul_u32_u24_e32 v1, 6, v1
	v_mul_u32_u24_e32 v4, 6, v0
	v_add_co_u32 v2, vcc_lo, s2, v2
	v_add_co_ci_u32_e32 v3, vcc_lo, s3, v3, vcc_lo
	v_lshlrev_b32_e32 v1, 3, v1
	s_clause 0x2
	global_load_dwordx4 v[58:61], v1, s[8:9] offset:1424
	global_load_dwordx4 v[65:68], v1, s[8:9] offset:1456
	;; [unrolled: 1-line block ×3, first 2 shown]
	v_lshlrev_b32_e32 v1, 3, v4
	s_clause 0x2
	global_load_dwordx4 v[73:76], v1, s[8:9] offset:1424
	global_load_dwordx4 v[77:80], v1, s[8:9] offset:1456
	;; [unrolled: 1-line block ×3, first 2 shown]
	v_mov_b32_e32 v1, 0
	v_lshlrev_b64 v[36:37], 3, v[0:1]
	v_add_co_u32 v40, vcc_lo, v2, v36
	v_add_co_ci_u32_e32 v41, vcc_lo, v3, v37, vcc_lo
	v_add_co_u32 v2, vcc_lo, 0x800, v40
	v_add_co_ci_u32_e32 v3, vcc_lo, 0, v41, vcc_lo
	;; [unrolled: 2-line block ×5, first 2 shown]
	s_waitcnt vmcnt(5) lgkmcnt(5)
	v_mul_f32_e32 v4, v45, v59
	s_waitcnt vmcnt(4) lgkmcnt(0)
	v_mul_f32_e32 v6, v55, v68
	s_waitcnt vmcnt(3)
	v_mul_f32_e32 v10, v51, v72
	v_mul_f32_e32 v20, v49, v70
	;; [unrolled: 1-line block ×10, first 2 shown]
	s_waitcnt vmcnt(2)
	v_mul_f32_e32 v85, v44, v74
	s_waitcnt vmcnt(1)
	v_mul_f32_e32 v86, v54, v80
	v_mul_f32_e32 v89, v46, v76
	;; [unrolled: 1-line block ×7, first 2 shown]
	s_waitcnt vmcnt(0)
	v_mul_f32_e32 v87, v50, v84
	v_mul_f32_e32 v88, v48, v82
	;; [unrolled: 1-line block ×4, first 2 shown]
	v_fma_f32 v4, v31, v58, -v4
	v_fma_f32 v6, v35, v67, -v6
	;; [unrolled: 1-line block ×6, first 2 shown]
	v_fmac_f32_e32 v68, v55, v67
	v_fmac_f32_e32 v59, v45, v58
	;; [unrolled: 1-line block ×6, first 2 shown]
	v_fma_f32 v29, v30, v73, -v85
	v_fma_f32 v30, v34, v79, -v86
	v_fma_f32 v24, v24, v75, -v89
	v_fma_f32 v28, v28, v77, -v90
	v_fmac_f32_e32 v80, v54, v79
	v_fmac_f32_e32 v74, v44, v73
	;; [unrolled: 1-line block ×4, first 2 shown]
	v_fma_f32 v31, v32, v83, -v87
	v_fma_f32 v26, v26, v81, -v88
	v_fmac_f32_e32 v82, v48, v81
	v_fmac_f32_e32 v84, v50, v83
	v_sub_f32_e32 v32, v4, v6
	v_sub_f32_e32 v33, v10, v20
	;; [unrolled: 1-line block ×3, first 2 shown]
	v_add_f32_e32 v35, v59, v68
	v_add_f32_e32 v44, v72, v70
	;; [unrolled: 1-line block ×6, first 2 shown]
	v_sub_f32_e32 v20, v59, v68
	v_sub_f32_e32 v25, v72, v70
	;; [unrolled: 1-line block ×5, first 2 shown]
	v_add_f32_e32 v49, v74, v80
	v_add_f32_e32 v51, v76, v78
	;; [unrolled: 1-line block ×4, first 2 shown]
	v_sub_f32_e32 v47, v31, v26
	v_add_f32_e32 v50, v84, v82
	v_add_f32_e32 v26, v31, v26
	v_sub_f32_e32 v28, v74, v80
	v_sub_f32_e32 v30, v84, v82
	;; [unrolled: 1-line block ×5, first 2 shown]
	v_add_f32_e32 v33, v33, v34
	v_sub_f32_e32 v55, v44, v45
	v_add_f32_e32 v58, v35, v45
	v_sub_f32_e32 v59, v4, v6
	v_sub_f32_e32 v60, v6, v10
	v_add_f32_e32 v61, v4, v10
	v_sub_f32_e32 v63, v25, v27
	v_sub_f32_e32 v34, v34, v32
	;; [unrolled: 1-line block ×4, first 2 shown]
	v_add_f32_e32 v67, v49, v51
	v_add_f32_e32 v70, v29, v24
	v_sub_f32_e32 v54, v35, v44
	v_sub_f32_e32 v62, v20, v25
	v_add_f32_e32 v25, v25, v27
	v_sub_f32_e32 v35, v45, v35
	v_sub_f32_e32 v27, v46, v47
	;; [unrolled: 1-line block ×3, first 2 shown]
	v_add_f32_e32 v47, v47, v48
	v_sub_f32_e32 v65, v49, v50
	v_sub_f32_e32 v66, v50, v51
	;; [unrolled: 1-line block ×6, first 2 shown]
	v_add_f32_e32 v30, v30, v31
	v_sub_f32_e32 v48, v48, v46
	v_sub_f32_e32 v49, v51, v49
	;; [unrolled: 1-line block ×4, first 2 shown]
	v_mul_f32_e32 v31, 0xbf08b237, v53
	v_mul_f32_e32 v51, 0x3d64c772, v55
	v_add_f32_e32 v44, v44, v58
	v_mul_f32_e32 v55, 0x3d64c772, v60
	v_add_f32_e32 v6, v6, v61
	v_mul_f32_e32 v58, 0xbf08b237, v63
	v_mul_f32_e32 v60, 0x3f5ff5aa, v34
	v_mul_f32_e32 v61, 0x3f5ff5aa, v10
	v_add_f32_e32 v50, v50, v67
	v_add_f32_e32 v26, v26, v70
	;; [unrolled: 1-line block ×3, first 2 shown]
	v_mul_f32_e32 v33, 0x3f4a47b2, v54
	v_mul_f32_e32 v53, 0x3f4a47b2, v59
	v_add_f32_e32 v25, v20, v25
	v_mul_f32_e32 v45, 0xbf08b237, v45
	v_mul_f32_e32 v63, 0x3d64c772, v66
	v_mul_f32_e32 v67, 0x3d64c772, v69
	v_mul_f32_e32 v69, 0xbf08b237, v72
	v_add_f32_e32 v28, v28, v30
	v_mul_f32_e32 v30, 0x3f5ff5aa, v48
	v_mul_f32_e32 v70, 0x3f5ff5aa, v29
	v_fmamk_f32 v72, v52, 0x3eae86e6, v31
	v_add_f32_e32 v20, v15, v44
	v_add_f32_e32 v19, v19, v6
	v_fmamk_f32 v73, v62, 0x3eae86e6, v58
	v_fma_f32 v52, 0xbeae86e6, v52, -v60
	v_fma_f32 v60, 0xbeae86e6, v62, -v61
	;; [unrolled: 1-line block ×3, first 2 shown]
	v_add_f32_e32 v15, v14, v50
	v_add_f32_e32 v14, v18, v26
	;; [unrolled: 1-line block ×3, first 2 shown]
	v_mul_f32_e32 v47, 0x3f4a47b2, v65
	v_mul_f32_e32 v66, 0x3f4a47b2, v68
	v_fmamk_f32 v54, v54, 0x3f4a47b2, v51
	v_fmamk_f32 v59, v59, 0x3f4a47b2, v55
	v_fma_f32 v33, 0xbf3bfb3b, v35, -v33
	v_fma_f32 v53, 0xbf3bfb3b, v4, -v53
	;; [unrolled: 1-line block ×5, first 2 shown]
	v_fmamk_f32 v34, v27, 0x3eae86e6, v45
	v_fmamk_f32 v51, v65, 0x3f4a47b2, v63
	;; [unrolled: 1-line block ×4, first 2 shown]
	v_fma_f32 v61, 0xbeae86e6, v27, -v30
	v_fma_f32 v62, 0xbeae86e6, v71, -v70
	;; [unrolled: 1-line block ×4, first 2 shown]
	v_fmamk_f32 v29, v44, 0xbf955555, v20
	v_fmamk_f32 v6, v6, 0xbf955555, v19
	v_fmac_f32_e32 v73, 0x3ee1c552, v25
	v_fmac_f32_e32 v60, 0x3ee1c552, v25
	;; [unrolled: 1-line block ×3, first 2 shown]
	v_fmamk_f32 v25, v50, 0xbf955555, v15
	v_fmamk_f32 v26, v26, 0xbf955555, v14
	v_fma_f32 v18, 0xbf3bfb3b, v49, -v47
	v_fma_f32 v27, 0xbf3bfb3b, v24, -v66
	;; [unrolled: 1-line block ×4, first 2 shown]
	v_fmac_f32_e32 v72, 0x3ee1c552, v32
	v_fmac_f32_e32 v52, 0x3ee1c552, v32
	;; [unrolled: 1-line block ×7, first 2 shown]
	v_add_f32_e32 v32, v59, v6
	v_add_f32_e32 v28, v33, v29
	;; [unrolled: 1-line block ×6, first 2 shown]
	v_fmac_f32_e32 v61, 0x3ee1c552, v46
	v_fmac_f32_e32 v47, 0x3ee1c552, v46
	v_add_f32_e32 v46, v18, v25
	v_add_f32_e32 v53, v27, v26
	;; [unrolled: 1-line block ×3, first 2 shown]
	global_store_dwordx2 v[40:41], v[14:15], off
	global_store_dwordx2 v[40:41], v[19:20], off offset:504
	v_add_f32_e32 v20, v54, v29
	v_add_f32_e32 v54, v24, v26
	;; [unrolled: 1-line block ×3, first 2 shown]
	v_sub_f32_e32 v51, v6, v34
	v_add_f32_e32 v50, v58, v44
	v_sub_f32_e32 v45, v48, v47
	v_add_f32_e32 v47, v47, v48
	;; [unrolled: 2-line block ×3, first 2 shown]
	v_add_f32_e32 v35, v61, v46
	v_sub_f32_e32 v46, v54, v63
	v_sub_f32_e32 v14, v32, v73
	v_add_f32_e32 v30, v73, v32
	v_sub_f32_e32 v32, v44, v58
	v_add_f32_e32 v44, v63, v54
	v_add_f32_e32 v19, v52, v28
	v_sub_f32_e32 v18, v33, v60
	v_sub_f32_e32 v25, v29, v31
	v_add_f32_e32 v27, v31, v29
	v_sub_f32_e32 v29, v28, v52
	v_add_f32_e32 v28, v60, v33
	v_add_f32_e32 v33, v34, v6
	v_sub_f32_e32 v34, v53, v62
	v_add_f32_e32 v15, v72, v20
	v_add_f32_e32 v24, v10, v4
	v_sub_f32_e32 v26, v4, v10
	v_sub_f32_e32 v31, v20, v72
	global_store_dwordx2 v[40:41], v[50:51], off offset:1440
	global_store_dwordx2 v[2:3], v[48:49], off offset:832
	;; [unrolled: 1-line block ×12, first 2 shown]
	s_and_b32 exec_lo, exec_lo, s0
	s_cbranch_execz .LBB0_34
; %bb.33:
	v_subrev_nc_u32_e32 v0, 54, v0
	v_cndmask_b32_e64 v0, v0, v64, s0
	v_mul_i32_i24_e32 v0, 6, v0
	v_lshlrev_b64 v[0:1], 3, v[0:1]
	v_add_co_u32 v0, vcc_lo, s8, v0
	v_add_co_ci_u32_e32 v1, vcc_lo, s9, v1, vcc_lo
	s_clause 0x2
	global_load_dwordx4 v[24:27], v[0:1], off offset:1424
	global_load_dwordx4 v[28:31], v[0:1], off offset:1440
	;; [unrolled: 1-line block ×3, first 2 shown]
	s_waitcnt vmcnt(2)
	v_mul_f32_e32 v0, v17, v25
	v_mul_f32_e32 v1, v9, v25
	v_mul_f32_e32 v4, v22, v27
	v_mul_f32_e32 v6, v12, v27
	s_waitcnt vmcnt(1)
	v_mul_f32_e32 v10, v23, v29
	v_mul_f32_e32 v18, v5, v31
	s_waitcnt vmcnt(0)
	v_mul_f32_e32 v19, v21, v33
	v_mul_f32_e32 v20, v11, v33
	;; [unrolled: 1-line block ×6, first 2 shown]
	v_fma_f32 v0, v9, v24, -v0
	v_fmac_f32_e32 v1, v17, v24
	v_fma_f32 v4, v12, v26, -v4
	v_fmac_f32_e32 v6, v22, v26
	v_fma_f32 v9, v13, v28, -v10
	v_fma_f32 v10, v56, v34, -v25
	v_fmac_f32_e32 v27, v57, v34
	v_fmac_f32_e32 v18, v7, v30
	v_fma_f32 v7, v11, v32, -v19
	v_fmac_f32_e32 v20, v21, v32
	v_fmac_f32_e32 v14, v23, v28
	v_fma_f32 v5, v5, v30, -v15
	v_add_f32_e32 v11, v0, v10
	v_add_f32_e32 v12, v1, v27
	v_sub_f32_e32 v0, v0, v10
	v_add_f32_e32 v10, v4, v7
	v_add_f32_e32 v13, v6, v20
	v_sub_f32_e32 v4, v4, v7
	v_sub_f32_e32 v6, v6, v20
	v_add_f32_e32 v7, v9, v5
	v_add_f32_e32 v15, v14, v18
	v_sub_f32_e32 v5, v5, v9
	;; [unrolled: 4-line block ×3, first 2 shown]
	v_sub_f32_e32 v18, v10, v11
	v_sub_f32_e32 v19, v13, v12
	v_sub_f32_e32 v11, v11, v7
	v_sub_f32_e32 v12, v12, v15
	v_sub_f32_e32 v10, v7, v10
	v_sub_f32_e32 v13, v15, v13
	v_add_f32_e32 v20, v5, v4
	v_add_f32_e32 v21, v9, v6
	v_sub_f32_e32 v22, v5, v4
	v_sub_f32_e32 v23, v9, v6
	;; [unrolled: 1-line block ×3, first 2 shown]
	v_add_f32_e32 v7, v7, v14
	v_add_f32_e32 v14, v15, v17
	v_sub_f32_e32 v6, v6, v1
	v_sub_f32_e32 v5, v0, v5
	;; [unrolled: 1-line block ×3, first 2 shown]
	v_add_f32_e32 v15, v20, v0
	v_add_f32_e32 v17, v21, v1
	v_mul_f32_e32 v11, 0x3f4a47b2, v11
	v_mul_f32_e32 v12, 0x3f4a47b2, v12
	v_mul_f32_e32 v20, 0x3d64c772, v10
	v_mul_f32_e32 v21, 0x3d64c772, v13
	v_mul_f32_e32 v22, 0xbf08b237, v22
	v_mul_f32_e32 v23, 0xbf08b237, v23
	v_mul_f32_e32 v24, 0x3f5ff5aa, v4
	v_add_f32_e32 v0, v8, v7
	v_add_f32_e32 v1, v16, v14
	v_mul_f32_e32 v25, 0x3f5ff5aa, v6
	v_fmamk_f32 v8, v10, 0x3d64c772, v11
	v_fmamk_f32 v10, v13, 0x3d64c772, v12
	v_fma_f32 v13, 0x3f3bfb3b, v18, -v20
	v_fma_f32 v16, 0x3f3bfb3b, v19, -v21
	;; [unrolled: 1-line block ×4, first 2 shown]
	v_fmamk_f32 v18, v5, 0x3eae86e6, v22
	v_fmamk_f32 v19, v9, 0x3eae86e6, v23
	v_fma_f32 v20, 0x3f5ff5aa, v4, -v22
	v_fma_f32 v22, 0xbeae86e6, v5, -v24
	v_fmamk_f32 v4, v7, 0xbf955555, v0
	v_fmamk_f32 v5, v14, 0xbf955555, v1
	v_fma_f32 v21, 0x3f5ff5aa, v6, -v23
	v_fma_f32 v23, 0xbeae86e6, v9, -v25
	v_fmac_f32_e32 v18, 0x3ee1c552, v15
	v_fmac_f32_e32 v19, 0x3ee1c552, v17
	;; [unrolled: 1-line block ×4, first 2 shown]
	v_add_f32_e32 v14, v8, v4
	v_add_f32_e32 v15, v10, v5
	v_fmac_f32_e32 v23, 0x3ee1c552, v17
	v_add_f32_e32 v10, v11, v4
	v_add_f32_e32 v11, v12, v5
	v_fmac_f32_e32 v21, 0x3ee1c552, v17
	v_add_f32_e32 v8, v13, v4
	v_add_f32_e32 v9, v16, v5
	global_store_dwordx2 v[40:41], v[0:1], off offset:1008
	v_add_f32_e32 v0, v19, v14
	v_sub_f32_e32 v1, v15, v18
	v_add_f32_e32 v4, v23, v10
	v_sub_f32_e32 v5, v11, v22
	v_sub_f32_e32 v6, v8, v21
	v_add_f32_e32 v7, v20, v9
	v_add_f32_e32 v8, v21, v8
	v_sub_f32_e32 v9, v9, v20
	v_sub_f32_e32 v10, v10, v23
	v_add_f32_e32 v11, v22, v11
	v_sub_f32_e32 v12, v14, v19
	v_add_f32_e32 v13, v18, v15
	global_store_dwordx2 v[2:3], v[0:1], off offset:400
	global_store_dwordx2 v[2:3], v[4:5], off offset:1840
	global_store_dwordx2 v[36:37], v[6:7], off offset:1232
	global_store_dwordx2 v[38:39], v[8:9], off offset:624
	global_store_dwordx2 v[42:43], v[10:11], off offset:16
	global_store_dwordx2 v[42:43], v[12:13], off offset:1456
.LBB0_34:
	s_endpgm
	.section	.rodata,"a",@progbits
	.p2align	6, 0x0
	.amdhsa_kernel fft_rtc_fwd_len1260_factors_2_2_3_3_5_7_wgs_63_tpt_63_halfLds_sp_ip_CI_unitstride_sbrr_dirReg
		.amdhsa_group_segment_fixed_size 0
		.amdhsa_private_segment_fixed_size 0
		.amdhsa_kernarg_size 88
		.amdhsa_user_sgpr_count 6
		.amdhsa_user_sgpr_private_segment_buffer 1
		.amdhsa_user_sgpr_dispatch_ptr 0
		.amdhsa_user_sgpr_queue_ptr 0
		.amdhsa_user_sgpr_kernarg_segment_ptr 1
		.amdhsa_user_sgpr_dispatch_id 0
		.amdhsa_user_sgpr_flat_scratch_init 0
		.amdhsa_user_sgpr_private_segment_size 0
		.amdhsa_wavefront_size32 1
		.amdhsa_uses_dynamic_stack 0
		.amdhsa_system_sgpr_private_segment_wavefront_offset 0
		.amdhsa_system_sgpr_workgroup_id_x 1
		.amdhsa_system_sgpr_workgroup_id_y 0
		.amdhsa_system_sgpr_workgroup_id_z 0
		.amdhsa_system_sgpr_workgroup_info 0
		.amdhsa_system_vgpr_workitem_id 0
		.amdhsa_next_free_vgpr 108
		.amdhsa_next_free_sgpr 21
		.amdhsa_reserve_vcc 1
		.amdhsa_reserve_flat_scratch 0
		.amdhsa_float_round_mode_32 0
		.amdhsa_float_round_mode_16_64 0
		.amdhsa_float_denorm_mode_32 3
		.amdhsa_float_denorm_mode_16_64 3
		.amdhsa_dx10_clamp 1
		.amdhsa_ieee_mode 1
		.amdhsa_fp16_overflow 0
		.amdhsa_workgroup_processor_mode 1
		.amdhsa_memory_ordered 1
		.amdhsa_forward_progress 0
		.amdhsa_shared_vgpr_count 0
		.amdhsa_exception_fp_ieee_invalid_op 0
		.amdhsa_exception_fp_denorm_src 0
		.amdhsa_exception_fp_ieee_div_zero 0
		.amdhsa_exception_fp_ieee_overflow 0
		.amdhsa_exception_fp_ieee_underflow 0
		.amdhsa_exception_fp_ieee_inexact 0
		.amdhsa_exception_int_div_zero 0
	.end_amdhsa_kernel
	.text
.Lfunc_end0:
	.size	fft_rtc_fwd_len1260_factors_2_2_3_3_5_7_wgs_63_tpt_63_halfLds_sp_ip_CI_unitstride_sbrr_dirReg, .Lfunc_end0-fft_rtc_fwd_len1260_factors_2_2_3_3_5_7_wgs_63_tpt_63_halfLds_sp_ip_CI_unitstride_sbrr_dirReg
                                        ; -- End function
	.section	.AMDGPU.csdata,"",@progbits
; Kernel info:
; codeLenInByte = 12044
; NumSgprs: 23
; NumVgprs: 108
; ScratchSize: 0
; MemoryBound: 0
; FloatMode: 240
; IeeeMode: 1
; LDSByteSize: 0 bytes/workgroup (compile time only)
; SGPRBlocks: 2
; VGPRBlocks: 13
; NumSGPRsForWavesPerEU: 23
; NumVGPRsForWavesPerEU: 108
; Occupancy: 9
; WaveLimiterHint : 1
; COMPUTE_PGM_RSRC2:SCRATCH_EN: 0
; COMPUTE_PGM_RSRC2:USER_SGPR: 6
; COMPUTE_PGM_RSRC2:TRAP_HANDLER: 0
; COMPUTE_PGM_RSRC2:TGID_X_EN: 1
; COMPUTE_PGM_RSRC2:TGID_Y_EN: 0
; COMPUTE_PGM_RSRC2:TGID_Z_EN: 0
; COMPUTE_PGM_RSRC2:TIDIG_COMP_CNT: 0
	.text
	.p2alignl 6, 3214868480
	.fill 48, 4, 3214868480
	.type	__hip_cuid_9c232d9e34228141,@object ; @__hip_cuid_9c232d9e34228141
	.section	.bss,"aw",@nobits
	.globl	__hip_cuid_9c232d9e34228141
__hip_cuid_9c232d9e34228141:
	.byte	0                               ; 0x0
	.size	__hip_cuid_9c232d9e34228141, 1

	.ident	"AMD clang version 19.0.0git (https://github.com/RadeonOpenCompute/llvm-project roc-6.4.0 25133 c7fe45cf4b819c5991fe208aaa96edf142730f1d)"
	.section	".note.GNU-stack","",@progbits
	.addrsig
	.addrsig_sym __hip_cuid_9c232d9e34228141
	.amdgpu_metadata
---
amdhsa.kernels:
  - .args:
      - .actual_access:  read_only
        .address_space:  global
        .offset:         0
        .size:           8
        .value_kind:     global_buffer
      - .offset:         8
        .size:           8
        .value_kind:     by_value
      - .actual_access:  read_only
        .address_space:  global
        .offset:         16
        .size:           8
        .value_kind:     global_buffer
      - .actual_access:  read_only
        .address_space:  global
        .offset:         24
        .size:           8
        .value_kind:     global_buffer
      - .offset:         32
        .size:           8
        .value_kind:     by_value
      - .actual_access:  read_only
        .address_space:  global
        .offset:         40
        .size:           8
        .value_kind:     global_buffer
      - .actual_access:  read_only
        .address_space:  global
        .offset:         48
        .size:           8
        .value_kind:     global_buffer
      - .offset:         56
        .size:           4
        .value_kind:     by_value
      - .actual_access:  read_only
        .address_space:  global
        .offset:         64
        .size:           8
        .value_kind:     global_buffer
      - .actual_access:  read_only
        .address_space:  global
        .offset:         72
        .size:           8
        .value_kind:     global_buffer
      - .address_space:  global
        .offset:         80
        .size:           8
        .value_kind:     global_buffer
    .group_segment_fixed_size: 0
    .kernarg_segment_align: 8
    .kernarg_segment_size: 88
    .language:       OpenCL C
    .language_version:
      - 2
      - 0
    .max_flat_workgroup_size: 63
    .name:           fft_rtc_fwd_len1260_factors_2_2_3_3_5_7_wgs_63_tpt_63_halfLds_sp_ip_CI_unitstride_sbrr_dirReg
    .private_segment_fixed_size: 0
    .sgpr_count:     23
    .sgpr_spill_count: 0
    .symbol:         fft_rtc_fwd_len1260_factors_2_2_3_3_5_7_wgs_63_tpt_63_halfLds_sp_ip_CI_unitstride_sbrr_dirReg.kd
    .uniform_work_group_size: 1
    .uses_dynamic_stack: false
    .vgpr_count:     108
    .vgpr_spill_count: 0
    .wavefront_size: 32
    .workgroup_processor_mode: 1
amdhsa.target:   amdgcn-amd-amdhsa--gfx1030
amdhsa.version:
  - 1
  - 2
...

	.end_amdgpu_metadata
